;; amdgpu-corpus repo=ROCm/rocFFT kind=compiled arch=gfx906 opt=O3
	.text
	.amdgcn_target "amdgcn-amd-amdhsa--gfx906"
	.amdhsa_code_object_version 6
	.protected	bluestein_single_fwd_len896_dim1_half_op_CI_CI ; -- Begin function bluestein_single_fwd_len896_dim1_half_op_CI_CI
	.globl	bluestein_single_fwd_len896_dim1_half_op_CI_CI
	.p2align	8
	.type	bluestein_single_fwd_len896_dim1_half_op_CI_CI,@function
bluestein_single_fwd_len896_dim1_half_op_CI_CI: ; @bluestein_single_fwd_len896_dim1_half_op_CI_CI
; %bb.0:
	s_load_dwordx4 s[16:19], s[4:5], 0x28
	v_mul_u32_u24_e32 v1, 0x24a, v0
	v_add_u32_sdwa v8, s6, v1 dst_sel:DWORD dst_unused:UNUSED_PAD src0_sel:DWORD src1_sel:WORD_1
	v_mov_b32_e32 v9, 0
	s_waitcnt lgkmcnt(0)
	v_cmp_gt_u64_e32 vcc, s[16:17], v[8:9]
	s_and_saveexec_b64 s[0:1], vcc
	s_cbranch_execz .LBB0_10
; %bb.1:
	s_load_dwordx4 s[8:11], s[4:5], 0x18
	s_load_dwordx4 s[0:3], s[4:5], 0x0
	s_movk_i32 s6, 0x70
	v_mul_lo_u16_sdwa v1, v1, s6 dst_sel:DWORD dst_unused:UNUSED_PAD src0_sel:WORD_1 src1_sel:DWORD
	v_sub_u16_e32 v35, v0, v1
	s_waitcnt lgkmcnt(0)
	s_load_dwordx4 s[12:15], s[8:9], 0x0
	v_lshlrev_b32_e32 v29, 2, v35
	global_load_dword v36, v29, s[0:1]
	v_lshlrev_b32_e32 v37, 3, v35
	v_add_u32_e32 v73, 0xe0, v35
	s_waitcnt lgkmcnt(0)
	v_mad_u64_u32 v[0:1], s[8:9], s14, v8, 0
	v_mad_u64_u32 v[2:3], s[8:9], s12, v35, 0
	s_mul_i32 s7, s13, 0x700
	v_add_u32_e32 v74, 0x150, v35
	v_mad_u64_u32 v[4:5], s[8:9], s15, v8, v[1:2]
	s_load_dwordx2 s[4:5], s[4:5], 0x38
                                        ; implicit-def: $vgpr83
                                        ; implicit-def: $vgpr82
                                        ; implicit-def: $vgpr79
                                        ; implicit-def: $vgpr84
                                        ; implicit-def: $vgpr86
                                        ; implicit-def: $vgpr87
                                        ; implicit-def: $vgpr85
	v_mad_u64_u32 v[5:6], s[8:9], s13, v35, v[3:4]
	v_mov_b32_e32 v1, v4
	v_lshlrev_b64 v[0:1], 2, v[0:1]
	v_mov_b32_e32 v6, s19
	v_mov_b32_e32 v3, v5
	v_add_co_u32_e32 v4, vcc, s18, v0
	v_addc_co_u32_e32 v5, vcc, v6, v1, vcc
	v_lshlrev_b64 v[0:1], 2, v[2:3]
	s_mul_hi_u32 s8, s12, 0x700
	v_add_co_u32_e32 v0, vcc, v4, v0
	v_addc_co_u32_e32 v1, vcc, v5, v1, vcc
	s_add_i32 s7, s8, s7
	s_mul_i32 s8, s12, 0x700
	s_mul_i32 s9, s13, 0xfffffac0
	s_mul_hi_u32 s13, s12, 0xfffffac0
	v_mov_b32_e32 v3, s7
	v_add_co_u32_e32 v2, vcc, s8, v0
	s_sub_i32 s13, s13, s12
	v_addc_co_u32_e32 v3, vcc, v1, v3, vcc
	s_add_i32 s9, s13, s9
	s_mulk_i32 s12, 0xfac0
	global_load_dword v4, v[0:1], off
	global_load_dword v5, v[2:3], off
	global_load_dword v34, v29, s[0:1] offset:1792
	v_mov_b32_e32 v1, s9
	v_add_co_u32_e32 v0, vcc, s12, v2
	v_addc_co_u32_e32 v1, vcc, v3, v1, vcc
	global_load_dword v2, v[0:1], off
	global_load_dword v33, v29, s[0:1] offset:448
	v_mov_b32_e32 v3, s7
	v_add_co_u32_e32 v0, vcc, s8, v0
	v_addc_co_u32_e32 v1, vcc, v1, v3, vcc
	;; [unrolled: 5-line block ×5, first 2 shown]
	global_load_dword v9, v[0:1], off
	global_load_dword v27, v29, s[0:1] offset:3136
	global_load_dword v28, v29, s[0:1] offset:1344
	v_mov_b32_e32 v10, s7
	v_add_co_u32_e32 v0, vcc, s8, v0
	v_addc_co_u32_e32 v1, vcc, v1, v10, vcc
	global_load_dword v0, v[0:1], off
	s_load_dwordx4 s[8:11], s[10:11], 0x0
	s_movk_i32 s7, 0x1f0
	s_movk_i32 s12, 0x380
	s_waitcnt vmcnt(14)
	v_lshrrev_b32_e32 v1, 16, v4
	v_mul_f16_sdwa v10, v36, v4 dst_sel:DWORD dst_unused:UNUSED_PAD src0_sel:WORD_1 src1_sel:DWORD
	v_mul_f16_sdwa v11, v36, v1 dst_sel:DWORD dst_unused:UNUSED_PAD src0_sel:WORD_1 src1_sel:DWORD
	v_fma_f16 v1, v36, v1, -v10
	s_waitcnt vmcnt(13)
	v_lshrrev_b32_e32 v10, 16, v5
	s_waitcnt vmcnt(12)
	v_mul_f16_sdwa v12, v34, v5 dst_sel:DWORD dst_unused:UNUSED_PAD src0_sel:WORD_1 src1_sel:DWORD
	v_fma_f16 v4, v36, v4, v11
	v_mul_f16_sdwa v11, v34, v10 dst_sel:DWORD dst_unused:UNUSED_PAD src0_sel:WORD_1 src1_sel:DWORD
	v_fma_f16 v10, v34, v10, -v12
	s_waitcnt vmcnt(11)
	v_lshrrev_b32_e32 v12, 16, v2
	s_waitcnt vmcnt(10)
	v_mul_f16_sdwa v13, v33, v2 dst_sel:DWORD dst_unused:UNUSED_PAD src0_sel:WORD_1 src1_sel:DWORD
	v_pack_b32_f16 v1, v4, v1
	v_fma_f16 v4, v34, v5, v11
	v_mul_f16_sdwa v5, v33, v12 dst_sel:DWORD dst_unused:UNUSED_PAD src0_sel:WORD_1 src1_sel:DWORD
	v_fma_f16 v11, v33, v12, -v13
	v_fma_f16 v2, v33, v2, v5
	v_pack_b32_f16 v4, v4, v10
	v_pack_b32_f16 v2, v2, v11
	ds_write_b32 v29, v4 offset:1792
	ds_write2_b32 v29, v1, v2 offset1:112
	s_waitcnt vmcnt(9)
	v_lshrrev_b32_e32 v1, 16, v3
	s_waitcnt vmcnt(8)
	v_mul_f16_sdwa v2, v32, v1 dst_sel:DWORD dst_unused:UNUSED_PAD src0_sel:WORD_1 src1_sel:DWORD
	v_fma_f16 v2, v32, v3, v2
	v_mul_f16_sdwa v3, v32, v3 dst_sel:DWORD dst_unused:UNUSED_PAD src0_sel:WORD_1 src1_sel:DWORD
	v_fma_f16 v1, v32, v1, -v3
	v_pack_b32_f16 v1, v2, v1
	s_waitcnt vmcnt(7)
	v_lshrrev_b32_e32 v2, 16, v6
	s_waitcnt vmcnt(6)
	v_mul_f16_sdwa v3, v31, v2 dst_sel:DWORD dst_unused:UNUSED_PAD src0_sel:WORD_1 src1_sel:DWORD
	v_mul_f16_sdwa v4, v31, v6 dst_sel:DWORD dst_unused:UNUSED_PAD src0_sel:WORD_1 src1_sel:DWORD
	v_fma_f16 v3, v31, v6, v3
	v_fma_f16 v2, v31, v2, -v4
	v_pack_b32_f16 v2, v3, v2
	s_waitcnt vmcnt(5)
	v_lshrrev_b32_e32 v3, 16, v7
	s_waitcnt vmcnt(4)
	v_mul_f16_sdwa v4, v30, v3 dst_sel:DWORD dst_unused:UNUSED_PAD src0_sel:WORD_1 src1_sel:DWORD
	v_mul_f16_sdwa v5, v30, v7 dst_sel:DWORD dst_unused:UNUSED_PAD src0_sel:WORD_1 src1_sel:DWORD
	v_fma_f16 v4, v30, v7, v4
	v_fma_f16 v3, v30, v3, -v5
	v_pack_b32_f16 v3, v4, v3
	v_add_u32_e32 v4, 0x800, v29
	ds_write2_b32 v4, v1, v3 offset0:48 offset1:160
	s_waitcnt vmcnt(3)
	v_lshrrev_b32_e32 v1, 16, v9
	s_waitcnt vmcnt(1)
	v_mul_f16_sdwa v3, v28, v1 dst_sel:DWORD dst_unused:UNUSED_PAD src0_sel:WORD_1 src1_sel:DWORD
	v_mul_f16_sdwa v4, v28, v9 dst_sel:DWORD dst_unused:UNUSED_PAD src0_sel:WORD_1 src1_sel:DWORD
	v_fma_f16 v3, v28, v9, v3
	v_fma_f16 v1, v28, v1, -v4
	v_pack_b32_f16 v3, v3, v1
	v_add_u32_e32 v1, 0x200, v29
	ds_write2_b32 v1, v2, v3 offset0:96 offset1:208
	s_waitcnt vmcnt(0)
	v_lshrrev_b32_e32 v2, 16, v0
	v_mul_f16_sdwa v3, v27, v2 dst_sel:DWORD dst_unused:UNUSED_PAD src0_sel:WORD_1 src1_sel:DWORD
	v_fma_f16 v3, v27, v0, v3
	v_mul_f16_sdwa v0, v27, v0 dst_sel:DWORD dst_unused:UNUSED_PAD src0_sel:WORD_1 src1_sel:DWORD
	v_fma_f16 v0, v27, v2, -v0
	v_pack_b32_f16 v0, v3, v0
	v_add_u32_e32 v2, 0x600, v29
	v_add_u32_e32 v3, 0xa00, v29
	ds_write_b32 v29, v0 offset:3136
	s_waitcnt lgkmcnt(0)
	s_barrier
	ds_read2_b32 v[4:5], v29 offset1:112
	ds_read2_b32 v[6:7], v2 offset0:64 offset1:176
	ds_read2_b32 v[11:12], v1 offset0:96 offset1:208
	;; [unrolled: 1-line block ×3, first 2 shown]
	v_add_co_u32_e32 v0, vcc, s6, v35
	s_waitcnt lgkmcnt(2)
	v_pk_add_f16 v10, v4, v6 neg_lo:[0,1] neg_hi:[0,1]
	v_pk_fma_f16 v9, v4, 2.0, v10 op_sel_hi:[1,0,1] neg_lo:[0,0,1] neg_hi:[0,0,1]
	s_waitcnt lgkmcnt(0)
	v_pk_add_f16 v16, v11, v13 neg_lo:[0,1] neg_hi:[0,1]
	v_pk_add_f16 v13, v12, v14 neg_lo:[0,1] neg_hi:[0,1]
	;; [unrolled: 1-line block ×3, first 2 shown]
	v_pk_fma_f16 v15, v11, 2.0, v16 op_sel_hi:[1,0,1] neg_lo:[0,0,1] neg_hi:[0,0,1]
	v_pk_fma_f16 v12, v12, 2.0, v13 op_sel_hi:[1,0,1] neg_lo:[0,0,1] neg_hi:[0,0,1]
	v_add_u32_e32 v4, 0x400, v37
	v_lshlrev_b32_e32 v39, 3, v0
	v_pk_fma_f16 v5, v5, 2.0, v6 op_sel_hi:[1,0,1] neg_lo:[0,0,1] neg_hi:[0,0,1]
	s_barrier
	ds_write_b64 v37, v[9:10]
	ds_write_b64 v39, v[5:6]
	ds_write2_b64 v4, v[15:16], v[12:13] offset0:96 offset1:208
	v_and_b32_e32 v15, 1, v35
	v_lshlrev_b32_e32 v4, 2, v15
	s_waitcnt lgkmcnt(0)
	s_barrier
	global_load_dword v38, v4, s[2:3]
	s_movk_i32 s6, 0xfc
	v_lshlrev_b32_e32 v4, 1, v35
	v_and_or_b32 v5, v4, s6, v15
	v_lshlrev_b32_e32 v40, 2, v5
	ds_read2_b32 v[5:6], v29 offset1:112
	ds_read2_b32 v[9:10], v2 offset0:64 offset1:176
	ds_read2_b32 v[11:12], v1 offset0:96 offset1:208
	;; [unrolled: 1-line block ×3, first 2 shown]
	s_waitcnt lgkmcnt(0)
	v_lshrrev_b32_e32 v7, 16, v5
	v_lshrrev_b32_e32 v16, 16, v9
	;; [unrolled: 1-line block ×3, first 2 shown]
	s_waitcnt vmcnt(0)
	s_barrier
	s_movk_i32 s6, 0x1fc
	v_mul_f16_sdwa v18, v9, v38 dst_sel:DWORD dst_unused:UNUSED_PAD src0_sel:DWORD src1_sel:WORD_1
	v_mul_f16_sdwa v19, v16, v38 dst_sel:DWORD dst_unused:UNUSED_PAD src0_sel:DWORD src1_sel:WORD_1
	v_fma_f16 v16, v16, v38, v18
	v_fma_f16 v9, v9, v38, -v19
	v_sub_f16_e32 v9, v5, v9
	v_sub_f16_e32 v16, v7, v16
	v_fma_f16 v7, v7, 2.0, -v16
	v_fma_f16 v5, v5, 2.0, -v9
	v_mul_f16_sdwa v20, v17, v38 dst_sel:DWORD dst_unused:UNUSED_PAD src0_sel:DWORD src1_sel:WORD_1
	v_mul_f16_sdwa v21, v10, v38 dst_sel:DWORD dst_unused:UNUSED_PAD src0_sel:DWORD src1_sel:WORD_1
	v_pack_b32_f16 v16, v9, v16
	v_pack_b32_f16 v5, v5, v7
	v_fma_f16 v10, v10, v38, -v20
	ds_write2_b32 v40, v5, v16 offset1:2
	v_fma_f16 v5, v17, v38, v21
	v_lshrrev_b32_e32 v9, 16, v6
	v_sub_f16_e32 v7, v6, v10
	v_sub_f16_e32 v5, v9, v5
	v_fma_f16 v6, v6, 2.0, -v7
	v_fma_f16 v9, v9, 2.0, -v5
	v_pack_b32_f16 v9, v6, v9
	v_lshlrev_b32_e32 v6, 1, v0
	v_pack_b32_f16 v5, v7, v5
	v_and_or_b32 v7, v6, s6, v15
	v_lshlrev_b32_e32 v41, 2, v7
	ds_write2_b32 v41, v9, v5 offset1:2
	v_lshrrev_b32_e32 v5, 16, v13
	v_mul_f16_sdwa v7, v13, v38 dst_sel:DWORD dst_unused:UNUSED_PAD src0_sel:DWORD src1_sel:WORD_1
	v_fma_f16 v7, v5, v38, v7
	v_mul_f16_sdwa v5, v5, v38 dst_sel:DWORD dst_unused:UNUSED_PAD src0_sel:DWORD src1_sel:WORD_1
	v_fma_f16 v5, v13, v38, -v5
	v_lshrrev_b32_e32 v9, 16, v11
	v_sub_f16_e32 v5, v11, v5
	v_sub_f16_e32 v7, v9, v7
	v_fma_f16 v9, v9, 2.0, -v7
	v_fma_f16 v10, v11, 2.0, -v5
	v_pack_b32_f16 v5, v5, v7
	s_movk_i32 s6, 0x3fc
	v_lshlrev_b32_e32 v7, 1, v73
	v_pack_b32_f16 v9, v10, v9
	v_and_or_b32 v10, v7, s6, v15
	v_lshlrev_b32_e32 v43, 2, v10
	ds_write2_b32 v43, v9, v5 offset1:2
	v_lshrrev_b32_e32 v5, 16, v14
	v_mul_f16_sdwa v9, v5, v38 dst_sel:DWORD dst_unused:UNUSED_PAD src0_sel:DWORD src1_sel:WORD_1
	v_mul_f16_sdwa v10, v14, v38 dst_sel:DWORD dst_unused:UNUSED_PAD src0_sel:DWORD src1_sel:WORD_1
	v_fma_f16 v9, v14, v38, -v9
	v_fma_f16 v5, v5, v38, v10
	v_lshrrev_b32_e32 v10, 16, v12
	v_sub_f16_e32 v9, v12, v9
	v_sub_f16_e32 v5, v10, v5
	v_fma_f16 v11, v12, 2.0, -v9
	v_fma_f16 v10, v10, 2.0, -v5
	v_pack_b32_f16 v9, v9, v5
	v_lshlrev_b32_e32 v5, 1, v74
	v_pack_b32_f16 v10, v11, v10
	v_and_or_b32 v11, v5, s6, v15
	v_lshlrev_b32_e32 v44, 2, v11
	v_and_b32_e32 v17, 3, v35
	ds_write2_b32 v44, v10, v9 offset1:2
	v_lshlrev_b32_e32 v9, 2, v17
	s_waitcnt lgkmcnt(0)
	s_barrier
	global_load_dword v42, v9, s[2:3] offset:8
	s_movk_i32 s6, 0xf8
	v_and_or_b32 v9, v4, s6, v17
	v_lshlrev_b32_e32 v45, 2, v9
	ds_read2_b32 v[9:10], v2 offset0:64 offset1:176
	ds_read2_b32 v[11:12], v29 offset1:112
	ds_read2_b32 v[13:14], v1 offset0:96 offset1:208
	ds_read2_b32 v[15:16], v3 offset0:32 offset1:144
	s_waitcnt lgkmcnt(0)
	v_lshrrev_b32_e32 v18, 16, v9
	v_lshrrev_b32_e32 v19, 16, v11
	;; [unrolled: 1-line block ×4, first 2 shown]
	s_waitcnt vmcnt(0)
	s_barrier
	s_movk_i32 s6, 0x1f8
	v_mul_f16_sdwa v22, v9, v42 dst_sel:DWORD dst_unused:UNUSED_PAD src0_sel:DWORD src1_sel:WORD_1
	v_mul_f16_sdwa v23, v18, v42 dst_sel:DWORD dst_unused:UNUSED_PAD src0_sel:DWORD src1_sel:WORD_1
	v_fma_f16 v18, v18, v42, v22
	v_fma_f16 v9, v9, v42, -v23
	v_sub_f16_e32 v9, v11, v9
	v_sub_f16_e32 v18, v19, v18
	v_mul_f16_sdwa v24, v20, v42 dst_sel:DWORD dst_unused:UNUSED_PAD src0_sel:DWORD src1_sel:WORD_1
	v_mul_f16_sdwa v25, v10, v42 dst_sel:DWORD dst_unused:UNUSED_PAD src0_sel:DWORD src1_sel:WORD_1
	v_fma_f16 v19, v19, 2.0, -v18
	v_pack_b32_f16 v18, v9, v18
	v_fma_f16 v9, v11, 2.0, -v9
	v_fma_f16 v10, v10, v42, -v24
	v_fma_f16 v20, v20, v42, v25
	v_pack_b32_f16 v9, v9, v19
	v_sub_f16_e32 v10, v12, v10
	ds_write2_b32 v45, v9, v18 offset1:4
	v_sub_f16_e32 v9, v21, v20
	v_fma_f16 v11, v12, 2.0, -v10
	v_fma_f16 v12, v21, 2.0, -v9
	v_pack_b32_f16 v9, v10, v9
	v_and_or_b32 v10, v6, s6, v17
	v_pack_b32_f16 v11, v11, v12
	v_lshlrev_b32_e32 v46, 2, v10
	ds_write2_b32 v46, v11, v9 offset1:4
	v_lshrrev_b32_e32 v9, 16, v15
	v_mul_f16_sdwa v10, v15, v42 dst_sel:DWORD dst_unused:UNUSED_PAD src0_sel:DWORD src1_sel:WORD_1
	v_fma_f16 v10, v9, v42, v10
	v_mul_f16_sdwa v9, v9, v42 dst_sel:DWORD dst_unused:UNUSED_PAD src0_sel:DWORD src1_sel:WORD_1
	v_fma_f16 v9, v15, v42, -v9
	v_lshrrev_b32_e32 v11, 16, v13
	v_sub_f16_e32 v9, v13, v9
	v_sub_f16_e32 v10, v11, v10
	s_movk_i32 s6, 0x3f8
	v_fma_f16 v11, v11, 2.0, -v10
	v_fma_f16 v12, v13, 2.0, -v9
	v_pack_b32_f16 v9, v9, v10
	v_and_or_b32 v10, v7, s6, v17
	v_pack_b32_f16 v11, v12, v11
	v_lshlrev_b32_e32 v48, 2, v10
	ds_write2_b32 v48, v11, v9 offset1:4
	v_lshrrev_b32_e32 v9, 16, v16
	v_mul_f16_sdwa v10, v9, v42 dst_sel:DWORD dst_unused:UNUSED_PAD src0_sel:DWORD src1_sel:WORD_1
	v_mul_f16_sdwa v11, v16, v42 dst_sel:DWORD dst_unused:UNUSED_PAD src0_sel:DWORD src1_sel:WORD_1
	v_fma_f16 v10, v16, v42, -v10
	v_fma_f16 v9, v9, v42, v11
	v_lshrrev_b32_e32 v11, 16, v14
	v_sub_f16_e32 v10, v14, v10
	v_sub_f16_e32 v9, v11, v9
	v_fma_f16 v12, v14, 2.0, -v10
	v_fma_f16 v11, v11, 2.0, -v9
	v_pack_b32_f16 v9, v10, v9
	v_and_or_b32 v10, v5, s6, v17
	v_pack_b32_f16 v11, v12, v11
	v_lshlrev_b32_e32 v49, 2, v10
	v_and_b32_e32 v17, 7, v35
	ds_write2_b32 v49, v11, v9 offset1:4
	v_lshlrev_b32_e32 v9, 2, v17
	s_waitcnt lgkmcnt(0)
	s_barrier
	global_load_dword v47, v9, s[2:3] offset:24
	s_movk_i32 s6, 0xf0
	v_and_or_b32 v9, v4, s6, v17
	v_lshlrev_b32_e32 v51, 2, v9
	v_and_or_b32 v9, v6, s7, v17
	v_lshlrev_b32_e32 v50, 2, v9
	ds_read2_b32 v[9:10], v2 offset0:64 offset1:176
	ds_read2_b32 v[11:12], v29 offset1:112
	ds_read2_b32 v[13:14], v1 offset0:96 offset1:208
	ds_read2_b32 v[15:16], v3 offset0:32 offset1:144
	s_waitcnt lgkmcnt(0)
	v_lshrrev_b32_e32 v18, 16, v9
	v_lshrrev_b32_e32 v20, 16, v10
	;; [unrolled: 1-line block ×5, first 2 shown]
	s_waitcnt vmcnt(0)
	s_barrier
	s_movk_i32 s6, 0x3f0
	s_movk_i32 s7, 0x1e0
	v_mul_f16_sdwa v23, v9, v47 dst_sel:DWORD dst_unused:UNUSED_PAD src0_sel:DWORD src1_sel:WORD_1
	v_mul_f16_sdwa v24, v18, v47 dst_sel:DWORD dst_unused:UNUSED_PAD src0_sel:DWORD src1_sel:WORD_1
	;; [unrolled: 1-line block ×4, first 2 shown]
	v_fma_f16 v18, v18, v47, v23
	v_fma_f16 v9, v9, v47, -v24
	v_fma_f16 v10, v10, v47, -v25
	v_fma_f16 v20, v20, v47, v26
	v_sub_f16_e32 v9, v11, v9
	v_sub_f16_e32 v18, v19, v18
	;; [unrolled: 1-line block ×4, first 2 shown]
	v_fma_f16 v19, v19, 2.0, -v18
	v_pack_b32_f16 v18, v9, v18
	v_fma_f16 v9, v11, 2.0, -v9
	v_fma_f16 v11, v12, 2.0, -v10
	;; [unrolled: 1-line block ×3, first 2 shown]
	v_pack_b32_f16 v10, v10, v20
	v_pack_b32_f16 v9, v9, v19
	;; [unrolled: 1-line block ×3, first 2 shown]
	ds_write2_b32 v51, v9, v18 offset1:8
	ds_write2_b32 v50, v11, v10 offset1:8
	v_mul_f16_sdwa v9, v15, v47 dst_sel:DWORD dst_unused:UNUSED_PAD src0_sel:DWORD src1_sel:WORD_1
	v_mul_f16_sdwa v10, v22, v47 dst_sel:DWORD dst_unused:UNUSED_PAD src0_sel:DWORD src1_sel:WORD_1
	v_fma_f16 v9, v22, v47, v9
	v_fma_f16 v10, v15, v47, -v10
	v_lshrrev_b32_e32 v11, 16, v13
	v_sub_f16_e32 v10, v13, v10
	v_sub_f16_e32 v9, v11, v9
	v_fma_f16 v11, v11, 2.0, -v9
	v_fma_f16 v12, v13, 2.0, -v10
	v_pack_b32_f16 v9, v10, v9
	v_and_or_b32 v10, v7, s6, v17
	v_pack_b32_f16 v11, v12, v11
	v_lshlrev_b32_e32 v53, 2, v10
	ds_write2_b32 v53, v11, v9 offset1:8
	v_lshrrev_b32_e32 v9, 16, v16
	v_mul_f16_sdwa v10, v9, v47 dst_sel:DWORD dst_unused:UNUSED_PAD src0_sel:DWORD src1_sel:WORD_1
	v_mul_f16_sdwa v11, v16, v47 dst_sel:DWORD dst_unused:UNUSED_PAD src0_sel:DWORD src1_sel:WORD_1
	v_fma_f16 v10, v16, v47, -v10
	v_fma_f16 v9, v9, v47, v11
	v_lshrrev_b32_e32 v11, 16, v14
	v_sub_f16_e32 v10, v14, v10
	v_sub_f16_e32 v9, v11, v9
	v_fma_f16 v12, v14, 2.0, -v10
	v_fma_f16 v11, v11, 2.0, -v9
	v_pack_b32_f16 v9, v10, v9
	v_and_or_b32 v10, v5, s6, v17
	v_pack_b32_f16 v11, v12, v11
	v_lshlrev_b32_e32 v54, 2, v10
	v_and_b32_e32 v17, 15, v35
	ds_write2_b32 v54, v11, v9 offset1:8
	v_lshlrev_b32_e32 v9, 2, v17
	s_waitcnt lgkmcnt(0)
	s_barrier
	global_load_dword v52, v9, s[2:3] offset:56
	s_movk_i32 s6, 0xe0
	v_and_or_b32 v9, v4, s6, v17
	v_lshlrev_b32_e32 v56, 2, v9
	v_and_or_b32 v9, v6, s7, v17
	v_lshlrev_b32_e32 v55, 2, v9
	ds_read2_b32 v[9:10], v2 offset0:64 offset1:176
	ds_read2_b32 v[11:12], v29 offset1:112
	ds_read2_b32 v[13:14], v1 offset0:96 offset1:208
	ds_read2_b32 v[15:16], v3 offset0:32 offset1:144
	s_movk_i32 s6, 0x3e0
	s_waitcnt lgkmcnt(3)
	v_lshrrev_b32_e32 v18, 16, v9
	v_lshrrev_b32_e32 v20, 16, v10
	s_waitcnt lgkmcnt(2)
	v_lshrrev_b32_e32 v19, 16, v11
	v_lshrrev_b32_e32 v21, 16, v12
	;; [unrolled: 3-line block ×3, first 2 shown]
	s_waitcnt vmcnt(0)
	s_barrier
	s_movk_i32 s7, 0x1c0
	v_mul_f16_sdwa v24, v9, v52 dst_sel:DWORD dst_unused:UNUSED_PAD src0_sel:DWORD src1_sel:WORD_1
	v_mul_f16_sdwa v25, v18, v52 dst_sel:DWORD dst_unused:UNUSED_PAD src0_sel:DWORD src1_sel:WORD_1
	;; [unrolled: 1-line block ×4, first 2 shown]
	v_fma_f16 v18, v18, v52, v24
	v_fma_f16 v9, v9, v52, -v25
	v_fma_f16 v10, v10, v52, -v26
	v_fma_f16 v20, v20, v52, v57
	v_mul_f16_sdwa v58, v15, v52 dst_sel:DWORD dst_unused:UNUSED_PAD src0_sel:DWORD src1_sel:WORD_1
	v_mul_f16_sdwa v59, v22, v52 dst_sel:DWORD dst_unused:UNUSED_PAD src0_sel:DWORD src1_sel:WORD_1
	v_sub_f16_e32 v9, v11, v9
	v_sub_f16_e32 v18, v19, v18
	;; [unrolled: 1-line block ×4, first 2 shown]
	v_fma_f16 v22, v22, v52, v58
	v_fma_f16 v15, v15, v52, -v59
	v_fma_f16 v19, v19, 2.0, -v18
	v_pack_b32_f16 v18, v9, v18
	v_fma_f16 v9, v11, 2.0, -v9
	v_fma_f16 v11, v12, 2.0, -v10
	;; [unrolled: 1-line block ×3, first 2 shown]
	v_sub_f16_e32 v15, v13, v15
	v_sub_f16_e32 v22, v23, v22
	v_pack_b32_f16 v9, v9, v19
	v_pack_b32_f16 v11, v11, v12
	v_pack_b32_f16 v10, v10, v20
	v_fma_f16 v20, v23, 2.0, -v22
	v_fma_f16 v13, v13, 2.0, -v15
	ds_write2_b32 v56, v9, v18 offset1:16
	ds_write2_b32 v55, v11, v10 offset1:16
	v_and_or_b32 v11, v7, s6, v17
	v_pack_b32_f16 v9, v13, v20
	v_pack_b32_f16 v10, v15, v22
	v_lshlrev_b32_e32 v57, 2, v11
	ds_write2_b32 v57, v9, v10 offset1:16
	v_lshrrev_b32_e32 v9, 16, v16
	v_mul_f16_sdwa v10, v9, v52 dst_sel:DWORD dst_unused:UNUSED_PAD src0_sel:DWORD src1_sel:WORD_1
	v_mul_f16_sdwa v11, v16, v52 dst_sel:DWORD dst_unused:UNUSED_PAD src0_sel:DWORD src1_sel:WORD_1
	v_fma_f16 v10, v16, v52, -v10
	v_fma_f16 v9, v9, v52, v11
	v_lshrrev_b32_e32 v11, 16, v14
	v_sub_f16_e32 v10, v14, v10
	v_sub_f16_e32 v9, v11, v9
	v_fma_f16 v12, v14, 2.0, -v10
	v_fma_f16 v11, v11, 2.0, -v9
	v_pack_b32_f16 v9, v10, v9
	v_and_or_b32 v10, v5, s6, v17
	v_pack_b32_f16 v11, v12, v11
	v_lshlrev_b32_e32 v60, 2, v10
	v_and_b32_e32 v17, 31, v35
	ds_write2_b32 v60, v11, v9 offset1:16
	v_lshlrev_b32_e32 v9, 2, v17
	v_and_b32_e32 v18, 31, v74
	s_waitcnt lgkmcnt(0)
	s_barrier
	global_load_dword v58, v9, s[2:3] offset:120
	v_lshlrev_b32_e32 v9, 2, v18
	global_load_dword v59, v9, s[2:3] offset:120
	v_and_b32_e32 v10, 31, v0
	v_lshlrev_b32_e32 v11, 2, v10
	global_load_ushort v61, v11, s[2:3] offset:120
	global_load_ushort v62, v9, s[2:3] offset:122
	s_movk_i32 s6, 0xc0
	v_and_or_b32 v9, v4, s6, v17
	v_lshlrev_b32_e32 v64, 2, v9
	v_and_or_b32 v9, v6, s7, v10
	v_lshlrev_b32_e32 v63, 2, v9
	ds_read2_b32 v[9:10], v2 offset0:64 offset1:176
	ds_read2_b32 v[11:12], v29 offset1:112
	ds_read2_b32 v[13:14], v1 offset0:96 offset1:208
	ds_read2_b32 v[15:16], v3 offset0:32 offset1:144
	s_movk_i32 s6, 0x3c0
	s_waitcnt lgkmcnt(3)
	v_lshrrev_b32_e32 v19, 16, v9
	v_lshrrev_b32_e32 v21, 16, v10
	s_waitcnt lgkmcnt(2)
	v_lshrrev_b32_e32 v20, 16, v11
	v_lshrrev_b32_e32 v22, 16, v12
	s_waitcnt lgkmcnt(0)
	v_lshrrev_b32_e32 v23, 16, v15
	s_waitcnt vmcnt(0)
	s_barrier
	v_lshrrev_b32_e32 v24, 16, v13
	s_movk_i32 s7, 0x180
	v_mul_f16_sdwa v25, v9, v58 dst_sel:DWORD dst_unused:UNUSED_PAD src0_sel:DWORD src1_sel:WORD_1
	v_mul_f16_sdwa v26, v19, v58 dst_sel:DWORD dst_unused:UNUSED_PAD src0_sel:DWORD src1_sel:WORD_1
	;; [unrolled: 1-line block ×4, first 2 shown]
	v_fma_f16 v19, v19, v58, v25
	v_fma_f16 v9, v9, v58, -v26
	v_fma_f16 v10, v10, v61, -v65
	v_fma_f16 v21, v21, v61, v66
	v_sub_f16_e32 v9, v11, v9
	v_sub_f16_e32 v19, v20, v19
	;; [unrolled: 1-line block ×4, first 2 shown]
	v_fma_f16 v20, v20, 2.0, -v19
	v_pack_b32_f16 v19, v9, v19
	v_fma_f16 v9, v11, 2.0, -v9
	v_fma_f16 v11, v12, 2.0, -v10
	;; [unrolled: 1-line block ×3, first 2 shown]
	v_pack_b32_f16 v9, v9, v20
	v_mul_f16_sdwa v67, v15, v58 dst_sel:DWORD dst_unused:UNUSED_PAD src0_sel:DWORD src1_sel:WORD_1
	v_mul_f16_sdwa v68, v23, v58 dst_sel:DWORD dst_unused:UNUSED_PAD src0_sel:DWORD src1_sel:WORD_1
	v_pack_b32_f16 v10, v10, v21
	v_pack_b32_f16 v11, v11, v12
	ds_write2_b32 v64, v9, v19 offset1:32
	ds_write2_b32 v63, v11, v10 offset1:32
	v_and_or_b32 v9, v7, s6, v17
	v_fma_f16 v23, v23, v58, v67
	v_fma_f16 v15, v15, v58, -v68
	v_lshlrev_b32_e32 v65, 2, v9
	v_lshrrev_b32_e32 v9, 16, v16
	v_sub_f16_e32 v15, v13, v15
	v_sub_f16_e32 v23, v24, v23
	v_mul_f16_e32 v10, v9, v62
	v_mul_f16_e32 v11, v16, v62
	v_fma_f16 v21, v24, 2.0, -v23
	v_fma_f16 v13, v13, 2.0, -v15
	v_fma_f16 v10, v16, v59, -v10
	v_fma_f16 v9, v9, v59, v11
	v_lshrrev_b32_e32 v11, 16, v14
	v_pack_b32_f16 v22, v15, v23
	v_pack_b32_f16 v12, v13, v21
	v_sub_f16_e32 v10, v14, v10
	v_sub_f16_e32 v9, v11, v9
	ds_write2_b32 v65, v12, v22 offset1:32
	v_fma_f16 v12, v14, 2.0, -v10
	v_fma_f16 v11, v11, 2.0, -v9
	v_pack_b32_f16 v9, v10, v9
	v_and_or_b32 v10, v5, s6, v18
	v_pack_b32_f16 v11, v12, v11
	v_lshlrev_b32_e32 v66, 2, v10
	ds_write2_b32 v66, v11, v9 offset1:32
	v_and_b32_e32 v9, 63, v35
	v_and_b32_e32 v11, 63, v0
	v_lshlrev_b32_e32 v10, 2, v9
	v_lshlrev_b32_e32 v12, 2, v11
	s_waitcnt lgkmcnt(0)
	s_barrier
	global_load_dword v70, v10, s[2:3] offset:248
	global_load_dword v69, v12, s[2:3] offset:248
	v_and_b32_e32 v10, 63, v73
	v_lshlrev_b32_e32 v12, 2, v10
	global_load_dword v68, v12, s[2:3] offset:248
	v_and_b32_e32 v12, 63, v74
	v_lshlrev_b32_e32 v13, 2, v12
	global_load_dword v67, v13, s[2:3] offset:248
	s_movk_i32 s6, 0x80
	v_and_or_b32 v4, v4, s6, v9
	v_lshlrev_b32_e32 v71, 2, v4
	v_and_or_b32 v4, v6, s7, v11
	v_and_or_b32 v11, v7, s12, v10
	v_lshlrev_b32_e32 v72, 2, v4
	ds_read2_b32 v[6:7], v2 offset0:64 offset1:176
	ds_read2_b32 v[9:10], v29 offset1:112
	ds_read2_b32 v[1:2], v1 offset0:96 offset1:208
	ds_read2_b32 v[3:4], v3 offset0:32 offset1:144
	v_lshlrev_b32_e32 v75, 2, v11
	s_waitcnt lgkmcnt(3)
	v_lshrrev_b32_e32 v13, 16, v6
	v_lshrrev_b32_e32 v15, 16, v7
	s_waitcnt lgkmcnt(2)
	v_lshrrev_b32_e32 v14, 16, v9
	s_waitcnt lgkmcnt(0)
	v_lshrrev_b32_e32 v17, 16, v3
	v_lshrrev_b32_e32 v16, 16, v10
	;; [unrolled: 1-line block ×3, first 2 shown]
	s_waitcnt vmcnt(0)
	s_barrier
	v_mul_f16_sdwa v19, v6, v70 dst_sel:DWORD dst_unused:UNUSED_PAD src0_sel:DWORD src1_sel:WORD_1
	v_mul_f16_sdwa v20, v13, v70 dst_sel:DWORD dst_unused:UNUSED_PAD src0_sel:DWORD src1_sel:WORD_1
	;; [unrolled: 1-line block ×6, first 2 shown]
	v_fma_f16 v13, v13, v70, v19
	v_fma_f16 v6, v6, v70, -v20
	v_fma_f16 v7, v7, v69, -v21
	v_fma_f16 v15, v15, v69, v22
	v_fma_f16 v17, v17, v68, v23
	v_fma_f16 v3, v3, v68, -v24
	v_sub_f16_e32 v6, v9, v6
	v_sub_f16_e32 v13, v14, v13
	;; [unrolled: 1-line block ×6, first 2 shown]
	v_fma_f16 v14, v14, 2.0, -v13
	v_pack_b32_f16 v13, v6, v13
	v_fma_f16 v6, v9, 2.0, -v6
	v_fma_f16 v9, v10, 2.0, -v7
	;; [unrolled: 1-line block ×3, first 2 shown]
	v_pack_b32_f16 v7, v7, v15
	v_fma_f16 v15, v18, 2.0, -v17
	v_fma_f16 v1, v1, 2.0, -v3
	v_pack_b32_f16 v6, v6, v14
	v_pack_b32_f16 v1, v1, v15
	;; [unrolled: 1-line block ×4, first 2 shown]
	ds_write2st64_b32 v71, v6, v13 offset1:1
	ds_write2st64_b32 v72, v9, v7 offset1:1
	;; [unrolled: 1-line block ×3, first 2 shown]
	v_lshrrev_b32_e32 v1, 16, v4
	v_mul_f16_sdwa v3, v1, v67 dst_sel:DWORD dst_unused:UNUSED_PAD src0_sel:DWORD src1_sel:WORD_1
	v_fma_f16 v3, v4, v67, -v3
	v_mul_f16_sdwa v4, v4, v67 dst_sel:DWORD dst_unused:UNUSED_PAD src0_sel:DWORD src1_sel:WORD_1
	v_fma_f16 v1, v1, v67, v4
	v_lshrrev_b32_e32 v4, 16, v2
	v_sub_f16_e32 v13, v2, v3
	v_sub_f16_e32 v77, v4, v1
	v_fma_f16 v2, v2, 2.0, -v13
	v_and_or_b32 v3, v5, s12, v12
	v_fma_f16 v1, v4, 2.0, -v77
	v_pack_b32_f16 v1, v2, v1
	v_lshlrev_b32_e32 v76, 2, v3
	v_pack_b32_f16 v2, v13, v77
	ds_write2st64_b32 v76, v1, v2 offset1:1
	s_waitcnt lgkmcnt(0)
	s_barrier
	ds_read_b32 v78, v29 offset:3072
	ds_read2st64_b32 v[15:16], v29 offset1:2
	ds_read2st64_b32 v[25:26], v29 offset0:4 offset1:6
	ds_read2st64_b32 v[21:22], v29 offset0:8 offset1:10
	v_mov_b32_e32 v1, s1
	v_add_co_u32_e32 v19, vcc, s0, v29
	v_addc_co_u32_e32 v20, vcc, 0, v1, vcc
	v_cmp_gt_u16_e32 vcc, 16, v35
                                        ; implicit-def: $vgpr18
                                        ; implicit-def: $vgpr24
	s_and_saveexec_b64 s[6:7], vcc
	s_cbranch_execz .LBB0_3
; %bb.2:
	v_add_u32_e32 v1, 0xc0, v29
	ds_read2_b32 v[13:14], v29 offset0:112 offset1:240
	ds_read2st64_b32 v[17:18], v1 offset0:5 offset1:7
	ds_read2st64_b32 v[23:24], v1 offset0:9 offset1:11
	ds_read_b32 v79, v29 offset:3520
	s_waitcnt lgkmcnt(3)
	v_lshrrev_b32_e32 v77, 16, v13
	v_lshrrev_b32_e32 v85, 16, v14
	s_waitcnt lgkmcnt(2)
	v_lshrrev_b32_e32 v87, 16, v17
	v_lshrrev_b32_e32 v83, 16, v18
	;; [unrolled: 3-line block ×3, first 2 shown]
	s_waitcnt lgkmcnt(0)
	v_lshrrev_b32_e32 v84, 16, v79
.LBB0_3:
	s_or_b64 exec, exec, s[6:7]
	v_mad_u64_u32 v[1:2], s[6:7], v35, 24, s[2:3]
	v_and_b32_e32 v0, 0x7f, v0
	v_mad_u64_u32 v[80:81], s[2:3], v0, 24, s[2:3]
	global_load_dwordx4 v[4:7], v[1:2], off offset:504
	global_load_dwordx2 v[11:12], v[1:2], off offset:520
	s_nop 0
	global_load_dwordx4 v[0:3], v[80:81], off offset:504
	global_load_dwordx2 v[9:10], v[80:81], off offset:520
	v_lshlrev_b32_e32 v81, 3, v73
	v_lshlrev_b32_e32 v80, 3, v74
	s_waitcnt lgkmcnt(2)
	v_lshrrev_b32_e32 v73, 16, v16
	s_waitcnt lgkmcnt(1)
	v_lshrrev_b32_e32 v74, 16, v25
	s_waitcnt lgkmcnt(0)
	v_lshrrev_b32_e32 v90, 16, v22
	v_lshrrev_b32_e32 v91, 16, v78
	v_lshrrev_b32_e32 v88, 16, v26
	;; [unrolled: 1-line block ×3, first 2 shown]
	s_movk_i32 s2, 0x2b26
	s_movk_i32 s3, 0x3b00
	s_mov_b32 s6, 0xbcab
	s_movk_i32 s7, 0x39e0
	s_mov_b32 s12, 0xb9e0
	;; [unrolled: 2-line block ×3, first 2 shown]
	s_movk_i32 s15, 0x370e
	s_waitcnt vmcnt(3)
	v_mul_f16_sdwa v92, v73, v4 dst_sel:DWORD dst_unused:UNUSED_PAD src0_sel:DWORD src1_sel:WORD_1
	v_mul_f16_sdwa v93, v16, v4 dst_sel:DWORD dst_unused:UNUSED_PAD src0_sel:DWORD src1_sel:WORD_1
	;; [unrolled: 1-line block ×4, first 2 shown]
	s_waitcnt vmcnt(2)
	v_mul_f16_sdwa v100, v90, v11 dst_sel:DWORD dst_unused:UNUSED_PAD src0_sel:DWORD src1_sel:WORD_1
	v_mul_f16_sdwa v101, v22, v11 dst_sel:DWORD dst_unused:UNUSED_PAD src0_sel:DWORD src1_sel:WORD_1
	;; [unrolled: 1-line block ×8, first 2 shown]
	v_fma_f16 v16, v16, v4, -v92
	v_fma_f16 v73, v73, v4, v93
	v_fma_f16 v25, v25, v5, -v94
	v_fma_f16 v74, v74, v5, v95
	v_fma_f16 v22, v22, v11, -v100
	v_fma_f16 v90, v90, v11, v101
	v_fma_f16 v78, v78, v12, -v102
	v_fma_f16 v91, v91, v12, v103
	s_waitcnt vmcnt(1)
	v_mul_f16_sdwa v92, v85, v0 dst_sel:DWORD dst_unused:UNUSED_PAD src0_sel:DWORD src1_sel:WORD_1
	v_mul_f16_sdwa v93, v14, v0 dst_sel:DWORD dst_unused:UNUSED_PAD src0_sel:DWORD src1_sel:WORD_1
	v_fma_f16 v26, v26, v6, -v96
	v_fma_f16 v88, v88, v6, v97
	v_fma_f16 v21, v21, v7, -v98
	v_fma_f16 v89, v89, v7, v99
	;; [unrolled: 2-line block ×3, first 2 shown]
	v_add_f16_e32 v92, v16, v78
	v_add_f16_e32 v93, v73, v91
	v_sub_f16_e32 v16, v16, v78
	v_sub_f16_e32 v73, v73, v91
	v_add_f16_e32 v78, v25, v22
	v_add_f16_e32 v91, v74, v90
	v_mul_f16_sdwa v94, v87, v1 dst_sel:DWORD dst_unused:UNUSED_PAD src0_sel:DWORD src1_sel:WORD_1
	v_mul_f16_sdwa v95, v17, v1 dst_sel:DWORD dst_unused:UNUSED_PAD src0_sel:DWORD src1_sel:WORD_1
	;; [unrolled: 1-line block ×6, first 2 shown]
	v_sub_f16_e32 v22, v25, v22
	v_sub_f16_e32 v25, v74, v90
	v_add_f16_e32 v74, v26, v21
	v_add_f16_e32 v90, v88, v89
	v_sub_f16_e32 v21, v21, v26
	v_sub_f16_e32 v26, v89, v88
	v_add_f16_e32 v88, v78, v92
	v_add_f16_e32 v89, v91, v93
	s_waitcnt vmcnt(0)
	v_mul_f16_sdwa v100, v82, v9 dst_sel:DWORD dst_unused:UNUSED_PAD src0_sel:DWORD src1_sel:WORD_1
	v_fma_f16 v17, v17, v1, -v94
	v_fma_f16 v87, v87, v1, v95
	v_fma_f16 v18, v18, v2, -v96
	v_fma_f16 v83, v83, v2, v97
	;; [unrolled: 2-line block ×3, first 2 shown]
	v_sub_f16_e32 v94, v78, v92
	v_sub_f16_e32 v95, v91, v93
	;; [unrolled: 1-line block ×6, first 2 shown]
	v_add_f16_e32 v96, v21, v22
	v_add_f16_e32 v97, v26, v25
	v_sub_f16_e32 v98, v21, v22
	v_sub_f16_e32 v99, v26, v25
	;; [unrolled: 1-line block ×4, first 2 shown]
	v_add_f16_e32 v74, v74, v88
	v_add_f16_e32 v88, v90, v89
	v_mul_f16_sdwa v101, v24, v9 dst_sel:DWORD dst_unused:UNUSED_PAD src0_sel:DWORD src1_sel:WORD_1
	v_fma_f16 v24, v24, v9, -v100
	v_sub_f16_e32 v21, v16, v21
	v_sub_f16_e32 v26, v73, v26
	v_add_f16_e32 v16, v96, v16
	v_add_f16_e32 v73, v97, v73
	;; [unrolled: 1-line block ×3, first 2 shown]
	v_add_f16_sdwa v90, v15, v88 dst_sel:DWORD dst_unused:UNUSED_PAD src0_sel:WORD_1 src1_sel:DWORD
	v_mul_f16_e32 v15, 0x3a52, v92
	v_mul_f16_e32 v92, 0x3a52, v93
	v_mul_f16_e32 v93, 0x2b26, v78
	v_mul_f16_e32 v96, 0x2b26, v91
	v_mul_f16_e32 v97, 0xb846, v98
	v_mul_f16_e32 v98, 0xb846, v99
	v_mul_f16_e32 v99, 0x3b00, v22
	v_mul_f16_e32 v100, 0x3b00, v25
	v_mul_f16_sdwa v102, v84, v10 dst_sel:DWORD dst_unused:UNUSED_PAD src0_sel:DWORD src1_sel:WORD_1
	v_mul_f16_sdwa v103, v79, v10 dst_sel:DWORD dst_unused:UNUSED_PAD src0_sel:DWORD src1_sel:WORD_1
	v_fma_f16 v74, v74, s6, v89
	v_fma_f16 v88, v88, s6, v90
	;; [unrolled: 1-line block ×4, first 2 shown]
	v_fma_f16 v93, v94, s7, -v93
	v_fma_f16 v96, v95, s7, -v96
	;; [unrolled: 1-line block ×4, first 2 shown]
	v_fma_f16 v94, v21, s13, v97
	v_fma_f16 v95, v26, s13, v98
	v_fma_f16 v22, v22, s3, -v97
	v_fma_f16 v25, v25, s3, -v98
	;; [unrolled: 1-line block ×4, first 2 shown]
	v_fma_f16 v82, v82, v9, v101
	v_fma_f16 v79, v79, v10, -v102
	v_fma_f16 v84, v84, v10, v103
	v_add_f16_e32 v78, v78, v74
	v_add_f16_e32 v91, v91, v88
	;; [unrolled: 1-line block ×6, first 2 shown]
	v_fma_f16 v88, v16, s15, v94
	v_fma_f16 v22, v16, s15, v22
	v_fma_f16 v25, v73, s15, v25
	v_fma_f16 v16, v16, s15, v21
	v_fma_f16 v21, v73, s15, v26
	v_fma_f16 v92, v73, s15, v95
	v_add_f16_e32 v97, v21, v15
	v_sub_f16_e32 v98, v74, v16
	v_sub_f16_e32 v99, v93, v25
	v_add_f16_e32 v100, v22, v96
	v_add_f16_e32 v93, v25, v93
	v_sub_f16_e32 v22, v96, v22
	v_sub_f16_e32 v96, v15, v21
	v_add_f16_e32 v101, v16, v74
	v_add_f16_e32 v15, v14, v79
	;; [unrolled: 1-line block ×6, first 2 shown]
	v_sub_f16_e32 v92, v78, v92
	v_sub_f16_e32 v14, v14, v79
	;; [unrolled: 1-line block ×5, first 2 shown]
	v_add_f16_e32 v73, v18, v23
	v_add_f16_e32 v74, v83, v86
	v_sub_f16_e32 v18, v23, v18
	v_sub_f16_e32 v23, v86, v83
	v_add_f16_e32 v78, v25, v15
	v_add_f16_e32 v79, v26, v16
	v_sub_f16_e32 v82, v25, v15
	v_sub_f16_e32 v83, v26, v16
	;; [unrolled: 1-line block ×6, first 2 shown]
	v_add_f16_e32 v84, v18, v17
	v_add_f16_e32 v85, v23, v24
	v_sub_f16_e32 v86, v18, v17
	v_sub_f16_e32 v87, v23, v24
	v_sub_f16_e32 v17, v17, v14
	v_sub_f16_e32 v24, v24, v21
	v_add_f16_e32 v73, v73, v78
	v_add_f16_e32 v74, v74, v79
	v_sub_f16_e32 v18, v14, v18
	v_sub_f16_e32 v23, v21, v23
	v_add_f16_e32 v14, v84, v14
	v_add_f16_e32 v78, v85, v21
	;; [unrolled: 1-line block ×4, first 2 shown]
	v_mul_f16_e32 v15, 0x3a52, v15
	v_mul_f16_e32 v16, 0x3a52, v16
	;; [unrolled: 1-line block ×8, first 2 shown]
	v_fma_f16 v73, v73, s6, v13
	v_fma_f16 v74, v74, s6, v21
	;; [unrolled: 1-line block ×4, first 2 shown]
	v_fma_f16 v77, v82, s7, -v77
	v_fma_f16 v79, v83, s7, -v79
	;; [unrolled: 1-line block ×4, first 2 shown]
	v_fma_f16 v82, v18, s13, v84
	v_fma_f16 v83, v23, s13, v85
	v_fma_f16 v17, v17, s3, -v84
	v_fma_f16 v24, v24, s3, -v85
	;; [unrolled: 1-line block ×4, first 2 shown]
	v_sub_f16_e32 v95, v91, v88
	v_add_f16_e32 v84, v25, v73
	v_add_f16_e32 v77, v77, v73
	;; [unrolled: 1-line block ×4, first 2 shown]
	v_fma_f16 v87, v14, s15, v17
	v_fma_f16 v17, v78, s15, v24
	;; [unrolled: 1-line block ×4, first 2 shown]
	v_add_f16_e32 v15, v18, v73
	v_sub_f16_e32 v25, v86, v24
	v_sub_f16_e32 v18, v73, v18
	v_add_f16_e32 v73, v24, v86
	v_pack_b32_f16 v23, v89, v90
	v_pack_b32_f16 v24, v94, v95
	ds_write2st64_b32 v29, v23, v24 offset1:2
	v_pack_b32_f16 v23, v97, v98
	v_pack_b32_f16 v24, v99, v100
	v_add_f16_e32 v88, v88, v91
	v_add_f16_e32 v85, v26, v74
	;; [unrolled: 1-line block ×3, first 2 shown]
	v_fma_f16 v82, v14, s15, v82
	v_fma_f16 v83, v78, s15, v83
	ds_write2st64_b32 v29, v23, v24 offset0:4 offset1:6
	v_pack_b32_f16 v22, v93, v22
	v_pack_b32_f16 v23, v96, v101
	v_add_f16_e32 v14, v83, v84
	v_sub_f16_e32 v26, v85, v82
	v_sub_f16_e32 v16, v77, v17
	v_add_f16_e32 v74, v87, v79
	v_add_f16_e32 v17, v17, v77
	v_sub_f16_e32 v77, v79, v87
	v_sub_f16_e32 v78, v84, v83
	v_add_f16_e32 v79, v82, v85
	ds_write2st64_b32 v29, v22, v23 offset0:8 offset1:10
	v_pack_b32_f16 v22, v92, v88
	ds_write_b32 v29, v22 offset:3072
	s_and_saveexec_b64 s[2:3], vcc
	s_cbranch_execz .LBB0_5
; %bb.4:
	s_mov_b32 s6, 0x5040100
	v_perm_b32 v13, v21, v13, s6
	v_perm_b32 v21, v26, v14, s6
	ds_write2_b32 v29, v13, v21 offset0:112 offset1:240
	v_perm_b32 v13, v25, v15, s6
	v_perm_b32 v21, v74, v16, s6
	v_add_u32_e32 v22, 0xc0, v29
	ds_write2st64_b32 v22, v13, v21 offset0:5 offset1:7
	v_perm_b32 v13, v77, v17, s6
	v_perm_b32 v21, v73, v18, s6
	ds_write2st64_b32 v22, v13, v21 offset0:9 offset1:11
	v_perm_b32 v13, v79, v78, s6
	ds_write_b32 v29, v13 offset:3520
.LBB0_5:
	s_or_b64 exec, exec, s[2:3]
	s_waitcnt lgkmcnt(0)
	s_barrier
	global_load_dword v13, v[19:20], off offset:3584
	s_add_u32 s0, s0, 0xe00
	s_addc_u32 s1, s1, 0
	v_lshlrev_b32_e32 v19, 2, v35
	global_load_dword v21, v19, s[0:1] offset:448
	global_load_dword v82, v19, s[0:1] offset:1792
	global_load_dword v83, v19, s[0:1] offset:2240
	global_load_dword v84, v19, s[0:1] offset:896
	global_load_dword v85, v19, s[0:1] offset:2688
	global_load_dword v86, v19, s[0:1] offset:3136
	global_load_dword v87, v19, s[0:1] offset:1344
	ds_read2_b32 v[19:20], v29 offset1:112
	v_add_u32_e32 v89, 0x600, v29
	v_add_u32_e32 v90, 0x200, v29
	;; [unrolled: 1-line block ×4, first 2 shown]
	s_waitcnt lgkmcnt(0)
	v_lshrrev_b32_e32 v22, 16, v19
	v_lshrrev_b32_e32 v23, 16, v20
	v_add_u32_e32 v92, 0x400, v29
	s_waitcnt vmcnt(7)
	v_mul_f16_sdwa v24, v22, v13 dst_sel:DWORD dst_unused:UNUSED_PAD src0_sel:DWORD src1_sel:WORD_1
	v_mul_f16_sdwa v93, v19, v13 dst_sel:DWORD dst_unused:UNUSED_PAD src0_sel:DWORD src1_sel:WORD_1
	v_fma_f16 v19, v19, v13, -v24
	v_fma_f16 v13, v22, v13, v93
	v_pack_b32_f16 v13, v19, v13
	s_waitcnt vmcnt(6)
	v_mul_f16_sdwa v19, v23, v21 dst_sel:DWORD dst_unused:UNUSED_PAD src0_sel:DWORD src1_sel:WORD_1
	v_mul_f16_sdwa v22, v20, v21 dst_sel:DWORD dst_unused:UNUSED_PAD src0_sel:DWORD src1_sel:WORD_1
	ds_write_b32 v29, v13
	v_fma_f16 v13, v20, v21, -v19
	v_fma_f16 v21, v23, v21, v22
	ds_read2_b32 v[19:20], v89 offset0:64 offset1:176
	v_pack_b32_f16 v13, v13, v21
	ds_read2_b32 v[21:22], v90 offset0:96 offset1:208
	ds_read2_b32 v[23:24], v91 offset0:32 offset1:144
	s_waitcnt lgkmcnt(2)
	v_lshrrev_b32_e32 v93, 16, v19
	s_waitcnt vmcnt(5)
	v_mul_f16_sdwa v94, v19, v82 dst_sel:DWORD dst_unused:UNUSED_PAD src0_sel:DWORD src1_sel:WORD_1
	v_lshrrev_b32_e32 v95, 16, v20
	s_waitcnt vmcnt(4)
	v_mul_f16_sdwa v96, v20, v83 dst_sel:DWORD dst_unused:UNUSED_PAD src0_sel:DWORD src1_sel:WORD_1
	s_waitcnt lgkmcnt(1)
	v_lshrrev_b32_e32 v97, 16, v21
	s_waitcnt vmcnt(3)
	v_mul_f16_sdwa v98, v21, v84 dst_sel:DWORD dst_unused:UNUSED_PAD src0_sel:DWORD src1_sel:WORD_1
	s_waitcnt lgkmcnt(0)
	v_lshrrev_b32_e32 v99, 16, v23
	s_waitcnt vmcnt(2)
	v_mul_f16_sdwa v100, v23, v85 dst_sel:DWORD dst_unused:UNUSED_PAD src0_sel:DWORD src1_sel:WORD_1
	v_lshrrev_b32_e32 v101, 16, v22
	s_waitcnt vmcnt(0)
	v_mul_f16_sdwa v102, v22, v87 dst_sel:DWORD dst_unused:UNUSED_PAD src0_sel:DWORD src1_sel:WORD_1
	v_lshrrev_b32_e32 v103, 16, v24
	v_mul_f16_sdwa v104, v24, v86 dst_sel:DWORD dst_unused:UNUSED_PAD src0_sel:DWORD src1_sel:WORD_1
	v_mul_f16_sdwa v105, v93, v82 dst_sel:DWORD dst_unused:UNUSED_PAD src0_sel:DWORD src1_sel:WORD_1
	v_fma_f16 v93, v93, v82, v94
	v_mul_f16_sdwa v94, v95, v83 dst_sel:DWORD dst_unused:UNUSED_PAD src0_sel:DWORD src1_sel:WORD_1
	v_fma_f16 v95, v95, v83, v96
	v_mul_f16_sdwa v96, v97, v84 dst_sel:DWORD dst_unused:UNUSED_PAD src0_sel:DWORD src1_sel:WORD_1
	v_fma_f16 v97, v97, v84, v98
	v_mul_f16_sdwa v98, v99, v85 dst_sel:DWORD dst_unused:UNUSED_PAD src0_sel:DWORD src1_sel:WORD_1
	v_fma_f16 v99, v99, v85, v100
	v_mul_f16_sdwa v100, v101, v87 dst_sel:DWORD dst_unused:UNUSED_PAD src0_sel:DWORD src1_sel:WORD_1
	v_fma_f16 v101, v101, v87, v102
	v_mul_f16_sdwa v102, v103, v86 dst_sel:DWORD dst_unused:UNUSED_PAD src0_sel:DWORD src1_sel:WORD_1
	v_fma_f16 v103, v103, v86, v104
	v_fma_f16 v19, v19, v82, -v105
	v_fma_f16 v20, v20, v83, -v94
	;; [unrolled: 1-line block ×6, first 2 shown]
	v_pack_b32_f16 v19, v19, v93
	v_pack_b32_f16 v20, v20, v95
	;; [unrolled: 1-line block ×6, first 2 shown]
	ds_write2_b32 v29, v13, v21 offset0:112 offset1:224
	ds_write2_b32 v88, v20, v23 offset0:48 offset1:160
	;; [unrolled: 1-line block ×3, first 2 shown]
	ds_write_b32 v29, v24 offset:3136
	s_waitcnt lgkmcnt(0)
	s_barrier
	ds_read2_b32 v[19:20], v29 offset1:112
	ds_read2_b32 v[21:22], v89 offset0:64 offset1:176
	ds_read2_b32 v[23:24], v90 offset0:96 offset1:208
	;; [unrolled: 1-line block ×3, first 2 shown]
	s_waitcnt lgkmcnt(0)
	s_barrier
	v_pk_add_f16 v84, v19, v21 neg_lo:[0,1] neg_hi:[0,1]
	v_pk_add_f16 v21, v20, v22 neg_lo:[0,1] neg_hi:[0,1]
	;; [unrolled: 1-line block ×4, first 2 shown]
	v_pk_fma_f16 v83, v19, 2.0, v84 op_sel_hi:[1,0,1] neg_lo:[0,0,1] neg_hi:[0,0,1]
	v_pk_fma_f16 v20, v20, 2.0, v21 op_sel_hi:[1,0,1] neg_lo:[0,0,1] neg_hi:[0,0,1]
	;; [unrolled: 1-line block ×4, first 2 shown]
	ds_write_b64 v37, v[83:84]
	ds_write_b64 v39, v[20:21]
	;; [unrolled: 1-line block ×4, first 2 shown]
	s_waitcnt lgkmcnt(0)
	s_barrier
	ds_read2_b32 v[19:20], v29 offset1:112
	ds_read2_b32 v[21:22], v89 offset0:64 offset1:176
	ds_read2_b32 v[23:24], v90 offset0:96 offset1:208
	;; [unrolled: 1-line block ×3, first 2 shown]
	s_waitcnt lgkmcnt(0)
	v_lshrrev_b32_e32 v13, 16, v19
	v_lshrrev_b32_e32 v37, 16, v21
	v_mul_f16_sdwa v87, v38, v37 dst_sel:DWORD dst_unused:UNUSED_PAD src0_sel:WORD_1 src1_sel:DWORD
	v_lshrrev_b32_e32 v82, 16, v22
	v_fma_f16 v87, v38, v21, v87
	v_mul_f16_sdwa v21, v38, v21 dst_sel:DWORD dst_unused:UNUSED_PAD src0_sel:WORD_1 src1_sel:DWORD
	v_fma_f16 v21, v38, v37, -v21
	v_mul_f16_sdwa v37, v38, v82 dst_sel:DWORD dst_unused:UNUSED_PAD src0_sel:WORD_1 src1_sel:DWORD
	v_lshrrev_b32_e32 v84, 16, v80
	v_fma_f16 v37, v38, v22, v37
	v_mul_f16_sdwa v22, v38, v22 dst_sel:DWORD dst_unused:UNUSED_PAD src0_sel:WORD_1 src1_sel:DWORD
	v_fma_f16 v22, v38, v82, -v22
	v_mul_f16_sdwa v82, v38, v84 dst_sel:DWORD dst_unused:UNUSED_PAD src0_sel:WORD_1 src1_sel:DWORD
	v_lshrrev_b32_e32 v86, 16, v81
	v_fma_f16 v82, v38, v80, v82
	v_mul_f16_sdwa v80, v38, v80 dst_sel:DWORD dst_unused:UNUSED_PAD src0_sel:WORD_1 src1_sel:DWORD
	v_fma_f16 v80, v38, v84, -v80
	v_mul_f16_sdwa v84, v38, v86 dst_sel:DWORD dst_unused:UNUSED_PAD src0_sel:WORD_1 src1_sel:DWORD
	v_fma_f16 v84, v38, v81, v84
	v_mul_f16_sdwa v81, v38, v81 dst_sel:DWORD dst_unused:UNUSED_PAD src0_sel:WORD_1 src1_sel:DWORD
	v_lshrrev_b32_e32 v39, 16, v20
	v_fma_f16 v38, v38, v86, -v81
	v_sub_f16_e32 v81, v19, v87
	v_sub_f16_e32 v21, v13, v21
	v_lshrrev_b32_e32 v83, 16, v23
	v_fma_f16 v19, v19, 2.0, -v81
	v_fma_f16 v13, v13, 2.0, -v21
	v_sub_f16_e32 v37, v20, v37
	v_sub_f16_e32 v22, v39, v22
	v_lshrrev_b32_e32 v85, 16, v24
	v_fma_f16 v20, v20, 2.0, -v37
	v_fma_f16 v39, v39, 2.0, -v22
	v_sub_f16_e32 v82, v23, v82
	v_sub_f16_e32 v80, v83, v80
	v_pack_b32_f16 v13, v19, v13
	v_pack_b32_f16 v19, v81, v21
	v_fma_f16 v23, v23, 2.0, -v82
	v_fma_f16 v83, v83, 2.0, -v80
	v_sub_f16_e32 v84, v24, v84
	v_sub_f16_e32 v38, v85, v38
	s_barrier
	ds_write2_b32 v40, v13, v19 offset1:2
	v_pack_b32_f16 v13, v20, v39
	v_pack_b32_f16 v19, v37, v22
	v_fma_f16 v24, v24, 2.0, -v84
	v_fma_f16 v85, v85, 2.0, -v38
	ds_write2_b32 v41, v13, v19 offset1:2
	v_pack_b32_f16 v13, v23, v83
	v_pack_b32_f16 v19, v82, v80
	ds_write2_b32 v43, v13, v19 offset1:2
	v_pack_b32_f16 v13, v24, v85
	v_pack_b32_f16 v19, v84, v38
	ds_write2_b32 v44, v13, v19 offset1:2
	s_waitcnt lgkmcnt(0)
	s_barrier
	ds_read2_b32 v[19:20], v29 offset1:112
	ds_read2_b32 v[21:22], v89 offset0:64 offset1:176
	ds_read2_b32 v[23:24], v90 offset0:96 offset1:208
	ds_read2_b32 v[37:38], v91 offset0:32 offset1:144
	s_waitcnt lgkmcnt(0)
	s_barrier
	v_lshrrev_b32_e32 v13, 16, v19
	v_lshrrev_b32_e32 v39, 16, v21
	v_mul_f16_sdwa v82, v42, v39 dst_sel:DWORD dst_unused:UNUSED_PAD src0_sel:WORD_1 src1_sel:DWORD
	v_lshrrev_b32_e32 v41, 16, v22
	v_fma_f16 v82, v42, v21, v82
	v_mul_f16_sdwa v21, v42, v21 dst_sel:DWORD dst_unused:UNUSED_PAD src0_sel:WORD_1 src1_sel:DWORD
	v_fma_f16 v21, v42, v39, -v21
	v_mul_f16_sdwa v39, v42, v41 dst_sel:DWORD dst_unused:UNUSED_PAD src0_sel:WORD_1 src1_sel:DWORD
	v_lshrrev_b32_e32 v44, 16, v37
	v_fma_f16 v39, v42, v22, v39
	v_mul_f16_sdwa v22, v42, v22 dst_sel:DWORD dst_unused:UNUSED_PAD src0_sel:WORD_1 src1_sel:DWORD
	v_fma_f16 v22, v42, v41, -v22
	v_mul_f16_sdwa v41, v42, v44 dst_sel:DWORD dst_unused:UNUSED_PAD src0_sel:WORD_1 src1_sel:DWORD
	v_lshrrev_b32_e32 v81, 16, v38
	v_fma_f16 v41, v42, v37, v41
	v_mul_f16_sdwa v37, v42, v37 dst_sel:DWORD dst_unused:UNUSED_PAD src0_sel:WORD_1 src1_sel:DWORD
	v_fma_f16 v37, v42, v44, -v37
	v_mul_f16_sdwa v44, v42, v81 dst_sel:DWORD dst_unused:UNUSED_PAD src0_sel:WORD_1 src1_sel:DWORD
	v_fma_f16 v44, v42, v38, v44
	v_mul_f16_sdwa v38, v42, v38 dst_sel:DWORD dst_unused:UNUSED_PAD src0_sel:WORD_1 src1_sel:DWORD
	v_lshrrev_b32_e32 v40, 16, v20
	v_fma_f16 v38, v42, v81, -v38
	v_sub_f16_e32 v42, v19, v82
	v_sub_f16_e32 v21, v13, v21
	v_lshrrev_b32_e32 v43, 16, v23
	v_fma_f16 v19, v19, 2.0, -v42
	v_fma_f16 v13, v13, 2.0, -v21
	v_sub_f16_e32 v39, v20, v39
	v_sub_f16_e32 v22, v40, v22
	v_lshrrev_b32_e32 v80, 16, v24
	v_fma_f16 v20, v20, 2.0, -v39
	v_fma_f16 v40, v40, 2.0, -v22
	v_sub_f16_e32 v41, v23, v41
	v_sub_f16_e32 v37, v43, v37
	v_pack_b32_f16 v13, v19, v13
	v_pack_b32_f16 v19, v42, v21
	v_fma_f16 v23, v23, 2.0, -v41
	v_fma_f16 v43, v43, 2.0, -v37
	v_sub_f16_e32 v44, v24, v44
	v_sub_f16_e32 v38, v80, v38
	ds_write2_b32 v45, v13, v19 offset1:4
	v_pack_b32_f16 v13, v20, v40
	v_pack_b32_f16 v19, v39, v22
	v_fma_f16 v24, v24, 2.0, -v44
	v_fma_f16 v80, v80, 2.0, -v38
	ds_write2_b32 v46, v13, v19 offset1:4
	v_pack_b32_f16 v13, v23, v43
	v_pack_b32_f16 v19, v41, v37
	ds_write2_b32 v48, v13, v19 offset1:4
	v_pack_b32_f16 v13, v24, v80
	v_pack_b32_f16 v19, v44, v38
	ds_write2_b32 v49, v13, v19 offset1:4
	s_waitcnt lgkmcnt(0)
	s_barrier
	ds_read2_b32 v[19:20], v29 offset1:112
	ds_read2_b32 v[21:22], v89 offset0:64 offset1:176
	ds_read2_b32 v[23:24], v90 offset0:96 offset1:208
	ds_read2_b32 v[37:38], v91 offset0:32 offset1:144
	s_waitcnt lgkmcnt(0)
	s_barrier
	v_lshrrev_b32_e32 v13, 16, v19
	v_lshrrev_b32_e32 v39, 16, v21
	v_mul_f16_sdwa v46, v47, v39 dst_sel:DWORD dst_unused:UNUSED_PAD src0_sel:WORD_1 src1_sel:DWORD
	v_lshrrev_b32_e32 v41, 16, v22
	v_fma_f16 v46, v47, v21, v46
	v_mul_f16_sdwa v21, v47, v21 dst_sel:DWORD dst_unused:UNUSED_PAD src0_sel:WORD_1 src1_sel:DWORD
	v_fma_f16 v21, v47, v39, -v21
	v_mul_f16_sdwa v39, v47, v41 dst_sel:DWORD dst_unused:UNUSED_PAD src0_sel:WORD_1 src1_sel:DWORD
	v_lshrrev_b32_e32 v43, 16, v37
	v_fma_f16 v39, v47, v22, v39
	v_mul_f16_sdwa v22, v47, v22 dst_sel:DWORD dst_unused:UNUSED_PAD src0_sel:WORD_1 src1_sel:DWORD
	v_fma_f16 v22, v47, v41, -v22
	v_mul_f16_sdwa v41, v47, v43 dst_sel:DWORD dst_unused:UNUSED_PAD src0_sel:WORD_1 src1_sel:DWORD
	v_lshrrev_b32_e32 v45, 16, v38
	v_fma_f16 v41, v47, v37, v41
	v_mul_f16_sdwa v37, v47, v37 dst_sel:DWORD dst_unused:UNUSED_PAD src0_sel:WORD_1 src1_sel:DWORD
	v_fma_f16 v37, v47, v43, -v37
	v_mul_f16_sdwa v43, v47, v45 dst_sel:DWORD dst_unused:UNUSED_PAD src0_sel:WORD_1 src1_sel:DWORD
	v_fma_f16 v43, v47, v38, v43
	v_mul_f16_sdwa v38, v47, v38 dst_sel:DWORD dst_unused:UNUSED_PAD src0_sel:WORD_1 src1_sel:DWORD
	v_lshrrev_b32_e32 v40, 16, v20
	v_fma_f16 v38, v47, v45, -v38
	v_sub_f16_e32 v45, v19, v46
	v_sub_f16_e32 v21, v13, v21
	v_lshrrev_b32_e32 v42, 16, v23
	v_fma_f16 v19, v19, 2.0, -v45
	v_fma_f16 v13, v13, 2.0, -v21
	v_sub_f16_e32 v39, v20, v39
	v_sub_f16_e32 v22, v40, v22
	v_lshrrev_b32_e32 v44, 16, v24
	v_fma_f16 v20, v20, 2.0, -v39
	v_fma_f16 v40, v40, 2.0, -v22
	v_sub_f16_e32 v41, v23, v41
	v_sub_f16_e32 v37, v42, v37
	v_pack_b32_f16 v13, v19, v13
	v_pack_b32_f16 v19, v45, v21
	v_fma_f16 v23, v23, 2.0, -v41
	v_fma_f16 v42, v42, 2.0, -v37
	v_sub_f16_e32 v43, v24, v43
	v_sub_f16_e32 v38, v44, v38
	ds_write2_b32 v51, v13, v19 offset1:8
	v_pack_b32_f16 v13, v20, v40
	v_pack_b32_f16 v19, v39, v22
	v_fma_f16 v24, v24, 2.0, -v43
	v_fma_f16 v44, v44, 2.0, -v38
	ds_write2_b32 v50, v13, v19 offset1:8
	v_pack_b32_f16 v13, v23, v42
	v_pack_b32_f16 v19, v41, v37
	ds_write2_b32 v53, v13, v19 offset1:8
	v_pack_b32_f16 v13, v24, v44
	v_pack_b32_f16 v19, v43, v38
	ds_write2_b32 v54, v13, v19 offset1:8
	s_waitcnt lgkmcnt(0)
	s_barrier
	ds_read2_b32 v[19:20], v29 offset1:112
	ds_read2_b32 v[21:22], v89 offset0:64 offset1:176
	ds_read2_b32 v[23:24], v90 offset0:96 offset1:208
	ds_read2_b32 v[37:38], v91 offset0:32 offset1:144
	s_waitcnt lgkmcnt(0)
	s_barrier
	v_lshrrev_b32_e32 v13, 16, v19
	v_lshrrev_b32_e32 v39, 16, v21
	v_mul_f16_sdwa v46, v52, v39 dst_sel:DWORD dst_unused:UNUSED_PAD src0_sel:WORD_1 src1_sel:DWORD
	v_lshrrev_b32_e32 v41, 16, v22
	v_fma_f16 v46, v52, v21, v46
	v_mul_f16_sdwa v21, v52, v21 dst_sel:DWORD dst_unused:UNUSED_PAD src0_sel:WORD_1 src1_sel:DWORD
	v_fma_f16 v21, v52, v39, -v21
	v_mul_f16_sdwa v39, v52, v41 dst_sel:DWORD dst_unused:UNUSED_PAD src0_sel:WORD_1 src1_sel:DWORD
	v_lshrrev_b32_e32 v43, 16, v37
	v_fma_f16 v39, v52, v22, v39
	v_mul_f16_sdwa v22, v52, v22 dst_sel:DWORD dst_unused:UNUSED_PAD src0_sel:WORD_1 src1_sel:DWORD
	v_fma_f16 v22, v52, v41, -v22
	v_mul_f16_sdwa v41, v52, v43 dst_sel:DWORD dst_unused:UNUSED_PAD src0_sel:WORD_1 src1_sel:DWORD
	v_lshrrev_b32_e32 v45, 16, v38
	v_fma_f16 v41, v52, v37, v41
	v_mul_f16_sdwa v37, v52, v37 dst_sel:DWORD dst_unused:UNUSED_PAD src0_sel:WORD_1 src1_sel:DWORD
	v_fma_f16 v37, v52, v43, -v37
	v_mul_f16_sdwa v43, v52, v45 dst_sel:DWORD dst_unused:UNUSED_PAD src0_sel:WORD_1 src1_sel:DWORD
	v_fma_f16 v43, v52, v38, v43
	v_mul_f16_sdwa v38, v52, v38 dst_sel:DWORD dst_unused:UNUSED_PAD src0_sel:WORD_1 src1_sel:DWORD
	v_lshrrev_b32_e32 v40, 16, v20
	v_fma_f16 v38, v52, v45, -v38
	v_sub_f16_e32 v45, v19, v46
	v_sub_f16_e32 v21, v13, v21
	v_lshrrev_b32_e32 v42, 16, v23
	v_fma_f16 v19, v19, 2.0, -v45
	v_fma_f16 v13, v13, 2.0, -v21
	v_sub_f16_e32 v39, v20, v39
	v_sub_f16_e32 v22, v40, v22
	v_lshrrev_b32_e32 v44, 16, v24
	v_fma_f16 v20, v20, 2.0, -v39
	v_fma_f16 v40, v40, 2.0, -v22
	v_sub_f16_e32 v41, v23, v41
	v_sub_f16_e32 v37, v42, v37
	v_pack_b32_f16 v13, v19, v13
	v_pack_b32_f16 v19, v45, v21
	v_fma_f16 v23, v23, 2.0, -v41
	v_fma_f16 v42, v42, 2.0, -v37
	v_sub_f16_e32 v43, v24, v43
	v_sub_f16_e32 v38, v44, v38
	ds_write2_b32 v56, v13, v19 offset1:16
	v_pack_b32_f16 v13, v20, v40
	v_pack_b32_f16 v19, v39, v22
	v_fma_f16 v24, v24, 2.0, -v43
	v_fma_f16 v44, v44, 2.0, -v38
	ds_write2_b32 v55, v13, v19 offset1:16
	v_pack_b32_f16 v13, v23, v42
	v_pack_b32_f16 v19, v41, v37
	ds_write2_b32 v57, v13, v19 offset1:16
	v_pack_b32_f16 v13, v24, v44
	v_pack_b32_f16 v19, v43, v38
	ds_write2_b32 v60, v13, v19 offset1:16
	s_waitcnt lgkmcnt(0)
	s_barrier
	ds_read2_b32 v[19:20], v29 offset1:112
	ds_read2_b32 v[21:22], v89 offset0:64 offset1:176
	ds_read2_b32 v[23:24], v90 offset0:96 offset1:208
	;; [unrolled: 1-line block ×3, first 2 shown]
	s_waitcnt lgkmcnt(0)
	s_barrier
	v_lshrrev_b32_e32 v13, 16, v19
	v_lshrrev_b32_e32 v39, 16, v21
	v_mul_f16_sdwa v46, v58, v39 dst_sel:DWORD dst_unused:UNUSED_PAD src0_sel:WORD_1 src1_sel:DWORD
	v_lshrrev_b32_e32 v41, 16, v22
	v_fma_f16 v46, v58, v21, v46
	v_mul_f16_sdwa v21, v58, v21 dst_sel:DWORD dst_unused:UNUSED_PAD src0_sel:WORD_1 src1_sel:DWORD
	v_fma_f16 v21, v58, v39, -v21
	v_mul_f16_sdwa v39, v59, v41 dst_sel:DWORD dst_unused:UNUSED_PAD src0_sel:WORD_1 src1_sel:DWORD
	v_lshrrev_b32_e32 v43, 16, v37
	v_fma_f16 v39, v61, v22, v39
	v_mul_f16_sdwa v22, v59, v22 dst_sel:DWORD dst_unused:UNUSED_PAD src0_sel:WORD_1 src1_sel:DWORD
	v_fma_f16 v22, v61, v41, -v22
	;; [unrolled: 5-line block ×3, first 2 shown]
	v_mul_f16_e32 v43, v62, v45
	v_fma_f16 v43, v59, v38, v43
	v_mul_f16_e32 v38, v62, v38
	v_lshrrev_b32_e32 v40, 16, v20
	v_fma_f16 v38, v59, v45, -v38
	v_sub_f16_e32 v45, v19, v46
	v_sub_f16_e32 v21, v13, v21
	v_lshrrev_b32_e32 v42, 16, v23
	v_fma_f16 v19, v19, 2.0, -v45
	v_fma_f16 v13, v13, 2.0, -v21
	v_sub_f16_e32 v39, v20, v39
	v_sub_f16_e32 v22, v40, v22
	v_lshrrev_b32_e32 v44, 16, v24
	v_fma_f16 v20, v20, 2.0, -v39
	v_fma_f16 v40, v40, 2.0, -v22
	v_sub_f16_e32 v41, v23, v41
	v_sub_f16_e32 v37, v42, v37
	v_pack_b32_f16 v13, v19, v13
	v_pack_b32_f16 v19, v45, v21
	v_fma_f16 v23, v23, 2.0, -v41
	v_fma_f16 v42, v42, 2.0, -v37
	v_sub_f16_e32 v43, v24, v43
	v_sub_f16_e32 v38, v44, v38
	ds_write2_b32 v64, v13, v19 offset1:32
	v_pack_b32_f16 v13, v20, v40
	v_pack_b32_f16 v19, v39, v22
	v_fma_f16 v24, v24, 2.0, -v43
	v_fma_f16 v44, v44, 2.0, -v38
	ds_write2_b32 v63, v13, v19 offset1:32
	v_pack_b32_f16 v13, v23, v42
	v_pack_b32_f16 v19, v41, v37
	ds_write2_b32 v65, v13, v19 offset1:32
	v_pack_b32_f16 v13, v24, v44
	v_pack_b32_f16 v19, v43, v38
	ds_write2_b32 v66, v13, v19 offset1:32
	s_waitcnt lgkmcnt(0)
	s_barrier
	ds_read2_b32 v[19:20], v29 offset1:112
	ds_read2_b32 v[21:22], v89 offset0:64 offset1:176
	ds_read2_b32 v[23:24], v90 offset0:96 offset1:208
	;; [unrolled: 1-line block ×3, first 2 shown]
	s_waitcnt lgkmcnt(0)
	s_barrier
	v_lshrrev_b32_e32 v13, 16, v19
	v_lshrrev_b32_e32 v39, 16, v21
	v_mul_f16_sdwa v46, v70, v39 dst_sel:DWORD dst_unused:UNUSED_PAD src0_sel:WORD_1 src1_sel:DWORD
	v_lshrrev_b32_e32 v41, 16, v22
	v_fma_f16 v46, v70, v21, v46
	v_mul_f16_sdwa v21, v70, v21 dst_sel:DWORD dst_unused:UNUSED_PAD src0_sel:WORD_1 src1_sel:DWORD
	v_fma_f16 v21, v70, v39, -v21
	v_mul_f16_sdwa v39, v69, v41 dst_sel:DWORD dst_unused:UNUSED_PAD src0_sel:WORD_1 src1_sel:DWORD
	v_lshrrev_b32_e32 v43, 16, v37
	v_fma_f16 v39, v69, v22, v39
	v_mul_f16_sdwa v22, v69, v22 dst_sel:DWORD dst_unused:UNUSED_PAD src0_sel:WORD_1 src1_sel:DWORD
	v_fma_f16 v22, v69, v41, -v22
	;; [unrolled: 5-line block ×3, first 2 shown]
	v_mul_f16_sdwa v43, v67, v45 dst_sel:DWORD dst_unused:UNUSED_PAD src0_sel:WORD_1 src1_sel:DWORD
	v_fma_f16 v43, v67, v38, v43
	v_mul_f16_sdwa v38, v67, v38 dst_sel:DWORD dst_unused:UNUSED_PAD src0_sel:WORD_1 src1_sel:DWORD
	v_lshrrev_b32_e32 v40, 16, v20
	v_fma_f16 v38, v67, v45, -v38
	v_sub_f16_e32 v45, v19, v46
	v_sub_f16_e32 v21, v13, v21
	v_lshrrev_b32_e32 v42, 16, v23
	v_fma_f16 v19, v19, 2.0, -v45
	v_fma_f16 v46, v13, 2.0, -v21
	v_sub_f16_e32 v39, v20, v39
	v_sub_f16_e32 v22, v40, v22
	v_lshrrev_b32_e32 v44, 16, v24
	v_fma_f16 v20, v20, 2.0, -v39
	v_fma_f16 v40, v40, 2.0, -v22
	v_sub_f16_e32 v41, v23, v41
	v_sub_f16_e32 v47, v42, v37
	v_pack_b32_f16 v19, v19, v46
	v_pack_b32_f16 v21, v45, v21
	v_fma_f16 v23, v23, 2.0, -v41
	v_fma_f16 v42, v42, 2.0, -v47
	v_sub_f16_e32 v13, v24, v43
	v_sub_f16_e32 v37, v44, v38
	ds_write2st64_b32 v71, v19, v21 offset1:1
	v_pack_b32_f16 v19, v20, v40
	v_pack_b32_f16 v20, v39, v22
	v_fma_f16 v24, v24, 2.0, -v13
	v_fma_f16 v38, v44, 2.0, -v37
	ds_write2st64_b32 v72, v19, v20 offset1:1
	v_pack_b32_f16 v19, v23, v42
	v_pack_b32_f16 v20, v41, v47
	ds_write2st64_b32 v75, v19, v20 offset1:1
	v_pack_b32_f16 v19, v24, v38
	v_pack_b32_f16 v20, v13, v37
	ds_write2st64_b32 v76, v19, v20 offset1:1
	s_waitcnt lgkmcnt(0)
	s_barrier
	ds_read2st64_b32 v[19:20], v29 offset1:2
	ds_read2st64_b32 v[23:24], v29 offset0:4 offset1:6
	ds_read2st64_b32 v[21:22], v29 offset0:8 offset1:10
	ds_read_b32 v38, v29 offset:3072
	s_and_saveexec_b64 s[0:1], vcc
	s_cbranch_execz .LBB0_7
; %bb.6:
	v_add_u32_e32 v17, 0xc0, v29
	ds_read2_b32 v[13:14], v29 offset0:112 offset1:240
	ds_read2st64_b32 v[15:16], v17 offset0:5 offset1:7
	ds_read2st64_b32 v[17:18], v17 offset0:9 offset1:11
	ds_read_b32 v78, v29 offset:3520
	s_waitcnt lgkmcnt(3)
	v_lshrrev_b32_e32 v37, 16, v13
	v_lshrrev_b32_e32 v26, 16, v14
	s_waitcnt lgkmcnt(2)
	v_lshrrev_b32_e32 v25, 16, v15
	v_lshrrev_b32_e32 v74, 16, v16
	s_waitcnt lgkmcnt(1)
	v_lshrrev_b32_e32 v77, 16, v17
	v_lshrrev_b32_e32 v73, 16, v18
	s_waitcnt lgkmcnt(0)
	v_lshrrev_b32_e32 v79, 16, v78
.LBB0_7:
	s_or_b64 exec, exec, s[0:1]
	s_waitcnt lgkmcnt(3)
	v_lshrrev_b32_e32 v39, 16, v20
	v_mul_f16_sdwa v45, v4, v39 dst_sel:DWORD dst_unused:UNUSED_PAD src0_sel:WORD_1 src1_sel:DWORD
	s_waitcnt lgkmcnt(2)
	v_lshrrev_b32_e32 v40, 16, v23
	v_fma_f16 v45, v4, v20, v45
	v_mul_f16_sdwa v20, v4, v20 dst_sel:DWORD dst_unused:UNUSED_PAD src0_sel:WORD_1 src1_sel:DWORD
	v_fma_f16 v4, v4, v39, -v20
	v_mul_f16_sdwa v20, v5, v40 dst_sel:DWORD dst_unused:UNUSED_PAD src0_sel:WORD_1 src1_sel:DWORD
	v_lshrrev_b32_e32 v41, 16, v24
	v_fma_f16 v20, v5, v23, v20
	v_mul_f16_sdwa v23, v5, v23 dst_sel:DWORD dst_unused:UNUSED_PAD src0_sel:WORD_1 src1_sel:DWORD
	v_fma_f16 v5, v5, v40, -v23
	v_mul_f16_sdwa v23, v6, v41 dst_sel:DWORD dst_unused:UNUSED_PAD src0_sel:WORD_1 src1_sel:DWORD
	s_waitcnt lgkmcnt(1)
	v_lshrrev_b32_e32 v42, 16, v21
	v_fma_f16 v23, v6, v24, v23
	v_mul_f16_sdwa v24, v6, v24 dst_sel:DWORD dst_unused:UNUSED_PAD src0_sel:WORD_1 src1_sel:DWORD
	v_fma_f16 v6, v6, v41, -v24
	v_mul_f16_sdwa v24, v7, v42 dst_sel:DWORD dst_unused:UNUSED_PAD src0_sel:WORD_1 src1_sel:DWORD
	v_lshrrev_b32_e32 v43, 16, v22
	v_fma_f16 v24, v7, v21, v24
	v_mul_f16_sdwa v21, v7, v21 dst_sel:DWORD dst_unused:UNUSED_PAD src0_sel:WORD_1 src1_sel:DWORD
	v_fma_f16 v7, v7, v42, -v21
	v_mul_f16_sdwa v21, v11, v43 dst_sel:DWORD dst_unused:UNUSED_PAD src0_sel:WORD_1 src1_sel:DWORD
	s_waitcnt lgkmcnt(0)
	v_lshrrev_b32_e32 v44, 16, v38
	v_fma_f16 v21, v11, v22, v21
	v_mul_f16_sdwa v22, v11, v22 dst_sel:DWORD dst_unused:UNUSED_PAD src0_sel:WORD_1 src1_sel:DWORD
	v_fma_f16 v11, v11, v43, -v22
	v_mul_f16_sdwa v22, v12, v44 dst_sel:DWORD dst_unused:UNUSED_PAD src0_sel:WORD_1 src1_sel:DWORD
	v_fma_f16 v22, v12, v38, v22
	v_mul_f16_sdwa v38, v12, v38 dst_sel:DWORD dst_unused:UNUSED_PAD src0_sel:WORD_1 src1_sel:DWORD
	v_fma_f16 v12, v12, v44, -v38
	v_add_f16_e32 v38, v45, v22
	v_add_f16_e32 v39, v4, v12
	v_sub_f16_e32 v4, v4, v12
	v_add_f16_e32 v12, v20, v21
	v_add_f16_e32 v40, v5, v11
	v_sub_f16_e32 v22, v45, v22
	v_sub_f16_e32 v20, v20, v21
	;; [unrolled: 1-line block ×3, first 2 shown]
	v_add_f16_e32 v11, v23, v24
	v_add_f16_e32 v21, v6, v7
	v_sub_f16_e32 v23, v24, v23
	v_sub_f16_e32 v6, v7, v6
	v_add_f16_e32 v7, v12, v38
	v_add_f16_e32 v24, v40, v39
	v_sub_f16_e32 v41, v12, v38
	v_sub_f16_e32 v42, v40, v39
	;; [unrolled: 1-line block ×6, first 2 shown]
	v_add_f16_e32 v43, v23, v20
	v_add_f16_e32 v44, v6, v5
	v_sub_f16_e32 v45, v23, v20
	v_sub_f16_e32 v46, v6, v5
	;; [unrolled: 1-line block ×4, first 2 shown]
	v_add_f16_e32 v7, v11, v7
	v_add_f16_e32 v11, v21, v24
	v_sub_f16_e32 v23, v22, v23
	v_sub_f16_e32 v6, v4, v6
	v_add_f16_e32 v21, v43, v22
	v_add_f16_e32 v4, v44, v4
	;; [unrolled: 1-line block ×3, first 2 shown]
	v_add_f16_sdwa v19, v19, v11 dst_sel:DWORD dst_unused:UNUSED_PAD src0_sel:WORD_1 src1_sel:DWORD
	v_mul_f16_e32 v24, 0x3a52, v38
	v_mul_f16_e32 v38, 0x3a52, v39
	s_movk_i32 s13, 0x2b26
	v_mul_f16_e32 v39, 0x2b26, v12
	v_mul_f16_e32 v43, 0x2b26, v40
	v_mul_f16_e32 v44, 0x3846, v45
	v_mul_f16_e32 v45, 0x3846, v46
	s_mov_b32 s2, 0xbb00
	v_mul_f16_e32 v46, 0xbb00, v20
	v_mul_f16_e32 v47, 0xbb00, v5
	s_mov_b32 s14, 0xbcab
	s_movk_i32 s3, 0x39e0
	s_mov_b32 s6, 0xb9e0
	s_mov_b32 s15, 0xb574
	s_movk_i32 s7, 0x3574
	v_fma_f16 v7, v7, s14, v22
	v_fma_f16 v11, v11, s14, v19
	v_fma_f16 v12, v12, s13, v24
	v_fma_f16 v40, v40, s13, v38
	v_fma_f16 v39, v41, s3, -v39
	v_fma_f16 v43, v42, s3, -v43
	;; [unrolled: 1-line block ×4, first 2 shown]
	v_fma_f16 v41, v23, s15, v44
	v_fma_f16 v42, v6, s15, v45
	v_fma_f16 v20, v20, s2, -v44
	v_fma_f16 v5, v5, s2, -v45
	;; [unrolled: 1-line block ×4, first 2 shown]
	s_mov_b32 s12, 0xb70e
	v_add_f16_e32 v12, v12, v7
	v_add_f16_e32 v40, v40, v11
	;; [unrolled: 1-line block ×6, first 2 shown]
	v_fma_f16 v24, v21, s12, v41
	v_fma_f16 v38, v4, s12, v42
	;; [unrolled: 1-line block ×6, first 2 shown]
	v_add_f16_e32 v6, v38, v12
	v_sub_f16_e32 v23, v40, v24
	v_add_f16_e32 v41, v4, v7
	v_sub_f16_e32 v44, v39, v5
	v_add_f16_e32 v45, v20, v43
	v_add_f16_e32 v5, v5, v39
	v_sub_f16_e32 v20, v43, v20
	v_sub_f16_e32 v4, v7, v4
	v_add_f16_e32 v7, v21, v11
	v_sub_f16_e32 v42, v11, v21
	v_sub_f16_e32 v11, v12, v38
	v_add_f16_e32 v12, v24, v40
	v_pack_b32_f16 v19, v22, v19
	v_pack_b32_f16 v6, v6, v23
	;; [unrolled: 1-line block ×4, first 2 shown]
	ds_write2st64_b32 v29, v19, v6 offset1:2
	v_pack_b32_f16 v6, v41, v42
	v_pack_b32_f16 v19, v44, v45
	ds_write2st64_b32 v29, v5, v4 offset0:8 offset1:10
	v_pack_b32_f16 v4, v11, v12
	ds_write2st64_b32 v29, v6, v19 offset0:4 offset1:6
	ds_write_b32 v29, v4 offset:3072
	s_and_saveexec_b64 s[0:1], vcc
	s_cbranch_execz .LBB0_9
; %bb.8:
	v_mul_f16_sdwa v11, v2, v74 dst_sel:DWORD dst_unused:UNUSED_PAD src0_sel:WORD_1 src1_sel:DWORD
	v_mul_f16_sdwa v4, v0, v26 dst_sel:DWORD dst_unused:UNUSED_PAD src0_sel:WORD_1 src1_sel:DWORD
	v_fma_f16 v11, v2, v16, v11
	v_mul_f16_sdwa v20, v1, v25 dst_sel:DWORD dst_unused:UNUSED_PAD src0_sel:WORD_1 src1_sel:DWORD
	v_mul_f16_sdwa v21, v9, v73 dst_sel:DWORD dst_unused:UNUSED_PAD src0_sel:WORD_1 src1_sel:DWORD
	;; [unrolled: 1-line block ×3, first 2 shown]
	v_fma_f16 v4, v0, v14, v4
	v_mul_f16_sdwa v5, v10, v79 dst_sel:DWORD dst_unused:UNUSED_PAD src0_sel:WORD_1 src1_sel:DWORD
	v_mul_f16_sdwa v7, v3, v77 dst_sel:DWORD dst_unused:UNUSED_PAD src0_sel:WORD_1 src1_sel:DWORD
	v_fma_f16 v20, v1, v15, v20
	v_fma_f16 v21, v9, v18, v21
	v_mul_f16_sdwa v38, v10, v78 dst_sel:DWORD dst_unused:UNUSED_PAD src0_sel:WORD_1 src1_sel:DWORD
	v_mul_f16_sdwa v14, v0, v14 dst_sel:DWORD dst_unused:UNUSED_PAD src0_sel:WORD_1 src1_sel:DWORD
	v_fma_f16 v2, v2, v74, -v16
	v_mul_f16_sdwa v16, v3, v17 dst_sel:DWORD dst_unused:UNUSED_PAD src0_sel:WORD_1 src1_sel:DWORD
	v_mul_f16_sdwa v18, v9, v18 dst_sel:DWORD dst_unused:UNUSED_PAD src0_sel:WORD_1 src1_sel:DWORD
	;; [unrolled: 1-line block ×3, first 2 shown]
	v_fma_f16 v5, v10, v78, v5
	v_fma_f16 v7, v3, v17, v7
	v_fma_f16 v10, v10, v79, -v38
	v_fma_f16 v0, v0, v26, -v14
	;; [unrolled: 1-line block ×5, first 2 shown]
	v_add_f16_e32 v14, v10, v0
	v_add_f16_e32 v16, v2, v3
	;; [unrolled: 1-line block ×3, first 2 shown]
	v_sub_f16_e32 v0, v0, v10
	v_sub_f16_e32 v2, v3, v2
	;; [unrolled: 1-line block ×6, first 2 shown]
	v_add_f16_e32 v4, v5, v4
	v_add_f16_e32 v5, v11, v7
	;; [unrolled: 1-line block ×3, first 2 shown]
	v_sub_f16_e32 v3, v0, v2
	v_sub_f16_e32 v9, v2, v1
	v_add_f16_e32 v2, v2, v1
	v_sub_f16_e32 v19, v6, v12
	v_sub_f16_e32 v23, v12, v22
	v_add_f16_e32 v12, v12, v22
	v_add_f16_e32 v26, v15, v14
	;; [unrolled: 1-line block ×4, first 2 shown]
	v_sub_f16_e32 v0, v1, v0
	v_add_f16_e32 v12, v12, v6
	v_sub_f16_e32 v17, v14, v16
	v_sub_f16_e32 v18, v16, v15
	v_add_f16_e32 v16, v16, v26
	v_sub_f16_e32 v7, v4, v5
	v_sub_f16_e32 v20, v5, v11
	v_add_f16_e32 v5, v5, v38
	v_mul_f16_e32 v9, 0x3846, v9
	v_sub_f16_e32 v6, v22, v6
	v_mul_f16_e32 v1, 0xbb00, v0
	v_mul_f16_e32 v23, 0x3846, v23
	;; [unrolled: 1-line block ×4, first 2 shown]
	v_add_f16_e32 v26, v37, v16
	v_mul_f16_e32 v7, 0x3a52, v7
	v_mul_f16_e32 v21, 0x2b26, v20
	v_add_f16_e32 v13, v13, v5
	v_fma_f16 v10, v3, s15, v9
	v_mul_f16_e32 v22, 0xbb00, v6
	v_sub_f16_e32 v14, v15, v14
	v_sub_f16_e32 v4, v11, v4
	v_fma_f16 v1, v3, s7, -v1
	v_fma_f16 v0, v0, s2, -v9
	v_fma_f16 v24, v19, s15, v23
	v_fma_f16 v18, v18, s13, v17
	;; [unrolled: 1-line block ×6, first 2 shown]
	v_fma_f16 v19, v19, s7, -v22
	v_fma_f16 v15, v14, s6, -v17
	v_fma_f16 v7, v4, s6, -v7
	v_fma_f16 v1, v2, s12, v1
	v_fma_f16 v11, v14, s3, -v25
	v_fma_f16 v6, v6, s2, -v23
	v_fma_f16 v0, v2, s12, v0
	v_fma_f16 v2, v4, s3, -v21
	v_fma_f16 v24, v12, s12, v24
	v_add_f16_e32 v18, v18, v16
	v_add_f16_e32 v20, v20, v5
	v_fma_f16 v19, v12, s12, v19
	v_add_f16_e32 v15, v15, v16
	v_add_f16_e32 v7, v7, v5
	;; [unrolled: 1-line block ×3, first 2 shown]
	v_fma_f16 v6, v12, s12, v6
	v_add_f16_e32 v2, v2, v5
	v_sub_f16_e32 v3, v7, v1
	v_sub_f16_e32 v12, v11, v6
	v_add_f16_e32 v4, v0, v2
	v_add_f16_e32 v5, v6, v11
	v_sub_f16_e32 v0, v2, v0
	v_sub_f16_e32 v2, v15, v19
	v_add_f16_e32 v1, v1, v7
	v_sub_f16_e32 v6, v18, v24
	v_add_f16_e32 v7, v10, v20
	v_add_f16_e32 v17, v19, v15
	v_pack_b32_f16 v9, v13, v26
	v_pack_b32_f16 v6, v7, v6
	;; [unrolled: 1-line block ×4, first 2 shown]
	v_add_u32_e32 v2, 0xc0, v29
	v_add_f16_e32 v37, v24, v18
	v_sub_f16_e32 v38, v20, v10
	ds_write2_b32 v29, v9, v6 offset0:112 offset1:240
	ds_write2st64_b32 v2, v1, v0 offset0:5 offset1:7
	v_pack_b32_f16 v0, v4, v12
	v_pack_b32_f16 v1, v3, v17
	ds_write2st64_b32 v2, v0, v1 offset0:9 offset1:11
	v_pack_b32_f16 v0, v38, v37
	ds_write_b32 v29, v0 offset:3520
.LBB0_9:
	s_or_b64 exec, exec, s[0:1]
	s_waitcnt lgkmcnt(0)
	s_barrier
	ds_read2_b32 v[0:1], v29 offset1:112
	s_mov_b32 s2, 0x92492492
	s_mov_b32 s3, 0x3f524924
	v_mad_u64_u32 v[4:5], s[0:1], s10, v8, 0
	s_waitcnt lgkmcnt(0)
	v_lshrrev_b32_e32 v7, 16, v0
	v_mul_f16_sdwa v2, v36, v7 dst_sel:DWORD dst_unused:UNUSED_PAD src0_sel:WORD_1 src1_sel:DWORD
	v_fma_f16 v2, v36, v0, v2
	v_cvt_f32_f16_e32 v2, v2
	s_movk_i32 s6, 0x1ff
	v_mad_u64_u32 v[5:6], s[0:1], s11, v8, v[5:6]
	v_cvt_f64_f32_e32 v[2:3], v2
	s_movk_i32 s7, 0xffe
	v_mul_f16_sdwa v0, v36, v0 dst_sel:DWORD dst_unused:UNUSED_PAD src0_sel:WORD_1 src1_sel:DWORD
	v_fma_f16 v0, v36, v7, -v0
	v_mul_f64 v[2:3], v[2:3], s[2:3]
	v_cvt_f32_f16_e32 v7, v0
	v_mov_b32_e32 v0, 0x7c00
	s_movk_i32 s10, 0x40f
	s_mov_b32 s11, 0x8000
	v_and_or_b32 v2, v3, s6, v2
	v_cmp_ne_u32_e32 vcc, 0, v2
	v_lshrrev_b32_e32 v6, 8, v3
	v_bfe_u32 v8, v3, 20, 11
	v_cndmask_b32_e64 v2, 0, 1, vcc
	v_sub_u32_e32 v9, 0x3f1, v8
	v_and_or_b32 v2, v6, s7, v2
	v_or_b32_e32 v6, 0x1000, v2
	v_med3_i32 v9, v9, 0, 13
	v_lshrrev_b32_e32 v10, v9, v6
	v_lshlrev_b32_e32 v9, v9, v10
	v_cmp_ne_u32_e32 vcc, v9, v6
	v_cndmask_b32_e64 v6, 0, 1, vcc
	v_add_u32_e32 v8, 0xfffffc10, v8
	v_or_b32_e32 v6, v10, v6
	v_lshl_or_b32 v9, v8, 12, v2
	v_cmp_gt_i32_e32 vcc, 1, v8
	v_cndmask_b32_e32 v6, v9, v6, vcc
	v_and_b32_e32 v9, 7, v6
	v_cmp_lt_i32_e32 vcc, 5, v9
	v_cmp_eq_u32_e64 s[0:1], 3, v9
	v_lshrrev_b32_e32 v6, 2, v6
	s_or_b64 vcc, s[0:1], vcc
	v_addc_co_u32_e32 v9, vcc, 0, v6, vcc
	v_cvt_f64_f32_e32 v[6:7], v7
	v_cmp_gt_i32_e32 vcc, 31, v8
	v_cndmask_b32_e32 v9, v0, v9, vcc
	v_cmp_ne_u32_e32 vcc, 0, v2
	v_mul_f64 v[6:7], v[6:7], s[2:3]
	v_cndmask_b32_e64 v2, 0, 1, vcc
	v_lshl_or_b32 v2, v2, 9, v0
	v_cmp_eq_u32_e32 vcc, s10, v8
	v_cndmask_b32_e32 v2, v9, v2, vcc
	v_lshrrev_b32_e32 v3, 16, v3
	v_and_or_b32 v10, v3, s11, v2
	v_and_b32_e32 v10, 0xffff, v10
	v_and_or_b32 v2, v7, s6, v6
	v_cmp_ne_u32_e32 vcc, 0, v2
	v_cndmask_b32_e64 v2, 0, 1, vcc
	v_lshrrev_b32_e32 v3, 8, v7
	v_bfe_u32 v6, v7, 20, 11
	v_and_or_b32 v2, v3, s7, v2
	v_sub_u32_e32 v8, 0x3f1, v6
	v_or_b32_e32 v3, 0x1000, v2
	v_med3_i32 v8, v8, 0, 13
	v_lshrrev_b32_e32 v9, v8, v3
	v_lshlrev_b32_e32 v8, v8, v9
	v_cmp_ne_u32_e32 vcc, v8, v3
	v_cndmask_b32_e64 v3, 0, 1, vcc
	v_add_u32_e32 v6, 0xfffffc10, v6
	v_or_b32_e32 v3, v9, v3
	v_lshl_or_b32 v8, v6, 12, v2
	v_cmp_gt_i32_e32 vcc, 1, v6
	v_cndmask_b32_e32 v3, v8, v3, vcc
	v_and_b32_e32 v8, 7, v3
	v_cmp_lt_i32_e32 vcc, 5, v8
	v_cmp_eq_u32_e64 s[0:1], 3, v8
	v_lshrrev_b32_e32 v3, 2, v3
	s_or_b64 vcc, s[0:1], vcc
	v_addc_co_u32_e32 v3, vcc, 0, v3, vcc
	v_cmp_gt_i32_e32 vcc, 31, v6
	v_cndmask_b32_e32 v3, v0, v3, vcc
	v_cmp_ne_u32_e32 vcc, 0, v2
	v_cndmask_b32_e64 v2, 0, 1, vcc
	v_cmp_eq_u32_e32 vcc, s10, v6
	v_add_u32_e32 v6, 0x600, v29
	ds_read2_b32 v[8:9], v6 offset0:64 offset1:176
	v_lshl_or_b32 v2, v2, 9, v0
	v_cndmask_b32_e32 v11, v3, v2, vcc
	v_mad_u64_u32 v[2:3], s[0:1], s8, v35, 0
	s_waitcnt lgkmcnt(0)
	v_lshrrev_b32_e32 v13, 16, v8
	v_lshrrev_b32_e32 v12, 16, v7
	v_mad_u64_u32 v[6:7], s[0:1], s9, v35, v[3:4]
	v_mul_f16_sdwa v3, v34, v13 dst_sel:DWORD dst_unused:UNUSED_PAD src0_sel:WORD_1 src1_sel:DWORD
	v_fma_f16 v3, v34, v8, v3
	v_cvt_f32_f16_e32 v7, v3
	v_mov_b32_e32 v3, v6
	v_lshlrev_b64 v[4:5], 2, v[4:5]
	v_and_or_b32 v11, v12, s11, v11
	v_cvt_f64_f32_e32 v[6:7], v7
	v_lshl_or_b32 v10, v11, 16, v10
	v_mov_b32_e32 v11, s5
	v_add_co_u32_e32 v4, vcc, s4, v4
	v_mul_f64 v[6:7], v[6:7], s[2:3]
	v_lshlrev_b64 v[2:3], 2, v[2:3]
	v_addc_co_u32_e32 v5, vcc, v11, v5, vcc
	v_add_co_u32_e32 v2, vcc, v4, v2
	v_addc_co_u32_e32 v3, vcc, v5, v3, vcc
	v_and_or_b32 v4, v7, s6, v6
	v_cmp_ne_u32_e32 vcc, 0, v4
	v_cndmask_b32_e64 v4, 0, 1, vcc
	v_lshrrev_b32_e32 v5, 8, v7
	v_and_or_b32 v6, v5, s7, v4
	v_bfe_u32 v5, v7, 20, 11
	global_store_dword v[2:3], v10, off
	v_sub_u32_e32 v10, 0x3f1, v5
	v_or_b32_e32 v4, 0x1000, v6
	v_med3_i32 v10, v10, 0, 13
	v_lshrrev_b32_e32 v11, v10, v4
	v_lshlrev_b32_e32 v10, v10, v11
	v_mul_f16_sdwa v8, v34, v8 dst_sel:DWORD dst_unused:UNUSED_PAD src0_sel:WORD_1 src1_sel:DWORD
	v_cmp_ne_u32_e32 vcc, v10, v4
	v_fma_f16 v8, v34, v13, -v8
	v_cndmask_b32_e64 v4, 0, 1, vcc
	v_add_u32_e32 v10, 0xfffffc10, v5
	v_cvt_f32_f16_e32 v8, v8
	v_or_b32_e32 v4, v11, v4
	v_lshl_or_b32 v5, v10, 12, v6
	v_cmp_gt_i32_e32 vcc, 1, v10
	v_cndmask_b32_e32 v4, v5, v4, vcc
	v_and_b32_e32 v5, 7, v4
	v_cmp_lt_i32_e32 vcc, 5, v5
	v_cmp_eq_u32_e64 s[0:1], 3, v5
	v_lshrrev_b32_e32 v11, 2, v4
	v_cvt_f64_f32_e32 v[4:5], v8
	s_or_b64 vcc, s[0:1], vcc
	v_addc_co_u32_e32 v8, vcc, 0, v11, vcc
	v_mul_f64 v[4:5], v[4:5], s[2:3]
	v_cmp_gt_i32_e32 vcc, 31, v10
	v_cndmask_b32_e32 v8, v0, v8, vcc
	v_cmp_ne_u32_e32 vcc, 0, v6
	v_cndmask_b32_e64 v6, 0, 1, vcc
	v_lshl_or_b32 v6, v6, 9, v0
	v_cmp_eq_u32_e32 vcc, s10, v10
	v_cndmask_b32_e32 v6, v8, v6, vcc
	v_and_or_b32 v4, v5, s6, v4
	v_lshrrev_b32_e32 v7, 16, v7
	v_cmp_ne_u32_e32 vcc, 0, v4
	v_and_or_b32 v6, v7, s11, v6
	v_cndmask_b32_e64 v4, 0, 1, vcc
	v_lshrrev_b32_e32 v7, 8, v5
	v_bfe_u32 v8, v5, 20, 11
	v_and_or_b32 v4, v7, s7, v4
	v_sub_u32_e32 v10, 0x3f1, v8
	v_or_b32_e32 v7, 0x1000, v4
	v_med3_i32 v10, v10, 0, 13
	v_lshrrev_b32_e32 v11, v10, v7
	v_lshlrev_b32_e32 v10, v10, v11
	v_cmp_ne_u32_e32 vcc, v10, v7
	v_cndmask_b32_e64 v7, 0, 1, vcc
	v_add_u32_e32 v8, 0xfffffc10, v8
	v_or_b32_e32 v7, v11, v7
	v_lshl_or_b32 v10, v8, 12, v4
	v_cmp_gt_i32_e32 vcc, 1, v8
	v_cndmask_b32_e32 v7, v10, v7, vcc
	v_and_b32_e32 v10, 7, v7
	v_cmp_lt_i32_e32 vcc, 5, v10
	v_cmp_eq_u32_e64 s[0:1], 3, v10
	v_lshrrev_b32_e32 v7, 2, v7
	s_or_b64 vcc, s[0:1], vcc
	v_addc_co_u32_e32 v7, vcc, 0, v7, vcc
	v_cmp_gt_i32_e32 vcc, 31, v8
	v_cndmask_b32_e32 v7, v0, v7, vcc
	v_cmp_ne_u32_e32 vcc, 0, v4
	v_cndmask_b32_e64 v4, 0, 1, vcc
	v_lshl_or_b32 v4, v4, 9, v0
	v_cmp_eq_u32_e32 vcc, s10, v8
	v_cndmask_b32_e32 v4, v7, v4, vcc
	v_lshrrev_b32_e32 v7, 16, v1
	v_mul_f16_sdwa v8, v33, v7 dst_sel:DWORD dst_unused:UNUSED_PAD src0_sel:WORD_1 src1_sel:DWORD
	v_fma_f16 v8, v33, v1, v8
	v_cvt_f32_f16_e32 v8, v8
	v_lshrrev_b32_e32 v5, 16, v5
	v_and_or_b32 v4, v5, s11, v4
	v_and_b32_e32 v5, 0xffff, v6
	v_lshl_or_b32 v6, v4, 16, v5
	v_cvt_f64_f32_e32 v[4:5], v8
	s_mul_i32 s0, s9, 0x700
	s_mul_hi_u32 s4, s8, 0x700
	s_add_i32 s4, s4, s0
	v_mul_f64 v[4:5], v[4:5], s[2:3]
	s_mul_i32 s5, s8, 0x700
	v_mov_b32_e32 v8, s4
	v_add_co_u32_e32 v2, vcc, s5, v2
	v_addc_co_u32_e32 v3, vcc, v3, v8, vcc
	global_store_dword v[2:3], v6, off
	v_and_or_b32 v4, v5, s6, v4
	v_cmp_ne_u32_e32 vcc, 0, v4
	v_cndmask_b32_e64 v4, 0, 1, vcc
	v_lshrrev_b32_e32 v6, 8, v5
	v_bfe_u32 v8, v5, 20, 11
	v_and_or_b32 v4, v6, s7, v4
	v_sub_u32_e32 v10, 0x3f1, v8
	v_or_b32_e32 v6, 0x1000, v4
	v_med3_i32 v10, v10, 0, 13
	v_lshrrev_b32_e32 v11, v10, v6
	v_lshlrev_b32_e32 v10, v10, v11
	v_mul_f16_sdwa v1, v33, v1 dst_sel:DWORD dst_unused:UNUSED_PAD src0_sel:WORD_1 src1_sel:DWORD
	v_cmp_ne_u32_e32 vcc, v10, v6
	v_fma_f16 v1, v33, v7, -v1
	v_cndmask_b32_e64 v6, 0, 1, vcc
	v_add_u32_e32 v8, 0xfffffc10, v8
	v_cvt_f32_f16_e32 v1, v1
	v_or_b32_e32 v6, v11, v6
	v_lshl_or_b32 v10, v8, 12, v4
	v_cmp_gt_i32_e32 vcc, 1, v8
	v_cndmask_b32_e32 v6, v10, v6, vcc
	v_and_b32_e32 v10, 7, v6
	v_cmp_lt_i32_e32 vcc, 5, v10
	v_cmp_eq_u32_e64 s[0:1], 3, v10
	v_lshrrev_b32_e32 v10, 2, v6
	v_cvt_f64_f32_e32 v[6:7], v1
	s_or_b64 vcc, s[0:1], vcc
	v_addc_co_u32_e32 v1, vcc, 0, v10, vcc
	v_mul_f64 v[6:7], v[6:7], s[2:3]
	v_cmp_gt_i32_e32 vcc, 31, v8
	v_cndmask_b32_e32 v1, v0, v1, vcc
	v_cmp_ne_u32_e32 vcc, 0, v4
	v_cndmask_b32_e64 v4, 0, 1, vcc
	v_lshl_or_b32 v4, v4, 9, v0
	v_cmp_eq_u32_e32 vcc, s10, v8
	v_cndmask_b32_e32 v1, v1, v4, vcc
	v_lshrrev_b32_e32 v4, 16, v5
	v_and_or_b32 v1, v4, s11, v1
	v_and_or_b32 v4, v7, s6, v6
	v_cmp_ne_u32_e32 vcc, 0, v4
	v_cndmask_b32_e64 v4, 0, 1, vcc
	v_lshrrev_b32_e32 v5, 8, v7
	v_bfe_u32 v6, v7, 20, 11
	v_and_or_b32 v4, v5, s7, v4
	v_sub_u32_e32 v8, 0x3f1, v6
	v_or_b32_e32 v5, 0x1000, v4
	v_med3_i32 v8, v8, 0, 13
	v_lshrrev_b32_e32 v10, v8, v5
	v_lshlrev_b32_e32 v8, v8, v10
	v_cmp_ne_u32_e32 vcc, v8, v5
	v_cndmask_b32_e64 v5, 0, 1, vcc
	v_add_u32_e32 v6, 0xfffffc10, v6
	v_or_b32_e32 v5, v10, v5
	v_lshl_or_b32 v8, v6, 12, v4
	v_cmp_gt_i32_e32 vcc, 1, v6
	v_cndmask_b32_e32 v5, v8, v5, vcc
	v_and_b32_e32 v8, 7, v5
	v_cmp_lt_i32_e32 vcc, 5, v8
	v_cmp_eq_u32_e64 s[0:1], 3, v8
	v_lshrrev_b32_e32 v5, 2, v5
	s_or_b64 vcc, s[0:1], vcc
	v_addc_co_u32_e32 v5, vcc, 0, v5, vcc
	v_cmp_gt_i32_e32 vcc, 31, v6
	v_cndmask_b32_e32 v5, v0, v5, vcc
	v_cmp_ne_u32_e32 vcc, 0, v4
	v_cndmask_b32_e64 v4, 0, 1, vcc
	v_lshl_or_b32 v4, v4, 9, v0
	v_cmp_eq_u32_e32 vcc, s10, v6
	v_cndmask_b32_e32 v4, v5, v4, vcc
	v_lshrrev_b32_e32 v5, 16, v7
	v_lshrrev_b32_e32 v6, 16, v9
	v_and_or_b32 v4, v5, s11, v4
	v_mul_f16_sdwa v5, v32, v6 dst_sel:DWORD dst_unused:UNUSED_PAD src0_sel:WORD_1 src1_sel:DWORD
	v_fma_f16 v5, v32, v9, v5
	v_cvt_f32_f16_e32 v5, v5
	v_and_b32_e32 v1, 0xffff, v1
	v_lshl_or_b32 v7, v4, 16, v1
	s_mul_hi_u32 s1, s8, 0xfffffac0
	v_cvt_f64_f32_e32 v[4:5], v5
	s_mul_i32 s0, s9, 0xfffffac0
	s_sub_i32 s9, s1, s8
	s_add_i32 s9, s9, s0
	v_mul_f64 v[4:5], v[4:5], s[2:3]
	s_mulk_i32 s8, 0xfac0
	v_mov_b32_e32 v8, s9
	v_add_co_u32_e32 v1, vcc, s8, v2
	v_addc_co_u32_e32 v2, vcc, v3, v8, vcc
	global_store_dword v[1:2], v7, off
	v_and_or_b32 v3, v5, s6, v4
	v_cmp_ne_u32_e32 vcc, 0, v3
	v_cndmask_b32_e64 v3, 0, 1, vcc
	v_lshrrev_b32_e32 v4, 8, v5
	v_and_or_b32 v7, v4, s7, v3
	v_bfe_u32 v4, v5, 20, 11
	v_sub_u32_e32 v8, 0x3f1, v4
	v_or_b32_e32 v3, 0x1000, v7
	v_med3_i32 v8, v8, 0, 13
	v_lshrrev_b32_e32 v10, v8, v3
	v_lshlrev_b32_e32 v8, v8, v10
	v_mul_f16_sdwa v9, v32, v9 dst_sel:DWORD dst_unused:UNUSED_PAD src0_sel:WORD_1 src1_sel:DWORD
	v_cmp_ne_u32_e32 vcc, v8, v3
	v_fma_f16 v6, v32, v6, -v9
	v_cndmask_b32_e64 v3, 0, 1, vcc
	v_add_u32_e32 v8, 0xfffffc10, v4
	v_cvt_f32_f16_e32 v6, v6
	v_or_b32_e32 v3, v10, v3
	v_lshl_or_b32 v4, v8, 12, v7
	v_cmp_gt_i32_e32 vcc, 1, v8
	v_cndmask_b32_e32 v3, v4, v3, vcc
	v_and_b32_e32 v4, 7, v3
	v_cmp_lt_i32_e32 vcc, 5, v4
	v_cmp_eq_u32_e64 s[0:1], 3, v4
	v_lshrrev_b32_e32 v9, 2, v3
	v_cvt_f64_f32_e32 v[3:4], v6
	s_or_b64 vcc, s[0:1], vcc
	v_addc_co_u32_e32 v6, vcc, 0, v9, vcc
	v_mul_f64 v[3:4], v[3:4], s[2:3]
	v_cmp_gt_i32_e32 vcc, 31, v8
	v_cndmask_b32_e32 v6, v0, v6, vcc
	v_cmp_ne_u32_e32 vcc, 0, v7
	v_cndmask_b32_e64 v7, 0, 1, vcc
	v_lshl_or_b32 v7, v7, 9, v0
	v_cmp_eq_u32_e32 vcc, s10, v8
	v_cndmask_b32_e32 v6, v6, v7, vcc
	v_and_or_b32 v3, v4, s6, v3
	v_lshrrev_b32_e32 v5, 16, v5
	v_cmp_ne_u32_e32 vcc, 0, v3
	v_and_or_b32 v9, v5, s11, v6
	v_cndmask_b32_e64 v3, 0, 1, vcc
	v_lshrrev_b32_e32 v5, 8, v4
	v_bfe_u32 v6, v4, 20, 11
	v_and_or_b32 v3, v5, s7, v3
	v_sub_u32_e32 v7, 0x3f1, v6
	v_or_b32_e32 v5, 0x1000, v3
	v_med3_i32 v7, v7, 0, 13
	v_lshrrev_b32_e32 v8, v7, v5
	v_lshlrev_b32_e32 v7, v7, v8
	v_cmp_ne_u32_e32 vcc, v7, v5
	v_cndmask_b32_e64 v5, 0, 1, vcc
	v_add_u32_e32 v7, 0xfffffc10, v6
	v_or_b32_e32 v5, v8, v5
	v_lshl_or_b32 v6, v7, 12, v3
	v_cmp_gt_i32_e32 vcc, 1, v7
	v_cndmask_b32_e32 v5, v6, v5, vcc
	v_and_b32_e32 v6, 7, v5
	v_cmp_lt_i32_e32 vcc, 5, v6
	v_cmp_eq_u32_e64 s[0:1], 3, v6
	v_lshrrev_b32_e32 v5, 2, v5
	s_or_b64 vcc, s[0:1], vcc
	v_addc_co_u32_e32 v8, vcc, 0, v5, vcc
	v_add_u32_e32 v5, 0x200, v29
	ds_read2_b32 v[5:6], v5 offset0:96 offset1:208
	v_cmp_gt_i32_e32 vcc, 31, v7
	v_cndmask_b32_e32 v8, v0, v8, vcc
	v_cmp_ne_u32_e32 vcc, 0, v3
	v_cndmask_b32_e64 v3, 0, 1, vcc
	s_waitcnt lgkmcnt(0)
	v_lshrrev_b32_e32 v10, 16, v5
	v_mul_f16_sdwa v11, v31, v10 dst_sel:DWORD dst_unused:UNUSED_PAD src0_sel:WORD_1 src1_sel:DWORD
	v_fma_f16 v11, v31, v5, v11
	v_cvt_f32_f16_e32 v11, v11
	v_lshl_or_b32 v3, v3, 9, v0
	v_cmp_eq_u32_e32 vcc, s10, v7
	v_cndmask_b32_e32 v3, v8, v3, vcc
	v_cvt_f64_f32_e32 v[7:8], v11
	v_lshrrev_b32_e32 v4, 16, v4
	v_and_or_b32 v11, v4, s11, v3
	v_add_co_u32_e32 v1, vcc, s5, v1
	v_mul_f64 v[3:4], v[7:8], s[2:3]
	v_mov_b32_e32 v8, s4
	v_and_b32_e32 v9, 0xffff, v9
	v_addc_co_u32_e32 v2, vcc, v2, v8, vcc
	v_lshl_or_b32 v7, v11, 16, v9
	global_store_dword v[1:2], v7, off
	v_mul_f16_sdwa v5, v31, v5 dst_sel:DWORD dst_unused:UNUSED_PAD src0_sel:WORD_1 src1_sel:DWORD
	v_and_or_b32 v3, v4, s6, v3
	v_cmp_ne_u32_e32 vcc, 0, v3
	v_cndmask_b32_e64 v3, 0, 1, vcc
	v_lshrrev_b32_e32 v7, 8, v4
	v_bfe_u32 v8, v4, 20, 11
	v_and_or_b32 v3, v7, s7, v3
	v_sub_u32_e32 v9, 0x3f1, v8
	v_or_b32_e32 v7, 0x1000, v3
	v_med3_i32 v9, v9, 0, 13
	v_lshrrev_b32_e32 v11, v9, v7
	v_lshlrev_b32_e32 v9, v9, v11
	v_cmp_ne_u32_e32 vcc, v9, v7
	v_fma_f16 v5, v31, v10, -v5
	v_cndmask_b32_e64 v7, 0, 1, vcc
	v_add_u32_e32 v9, 0xfffffc10, v8
	v_cvt_f32_f16_e32 v5, v5
	v_or_b32_e32 v7, v11, v7
	v_lshl_or_b32 v8, v9, 12, v3
	v_cmp_gt_i32_e32 vcc, 1, v9
	v_cndmask_b32_e32 v7, v8, v7, vcc
	v_and_b32_e32 v8, 7, v7
	v_cmp_lt_i32_e32 vcc, 5, v8
	v_cmp_eq_u32_e64 s[0:1], 3, v8
	v_lshrrev_b32_e32 v10, 2, v7
	v_cvt_f64_f32_e32 v[7:8], v5
	s_or_b64 vcc, s[0:1], vcc
	v_addc_co_u32_e32 v5, vcc, 0, v10, vcc
	v_mul_f64 v[7:8], v[7:8], s[2:3]
	v_cmp_gt_i32_e32 vcc, 31, v9
	v_cndmask_b32_e32 v5, v0, v5, vcc
	v_cmp_ne_u32_e32 vcc, 0, v3
	v_cndmask_b32_e64 v3, 0, 1, vcc
	v_lshl_or_b32 v3, v3, 9, v0
	v_cmp_eq_u32_e32 vcc, s10, v9
	v_cndmask_b32_e32 v3, v5, v3, vcc
	v_lshrrev_b32_e32 v4, 16, v4
	v_and_or_b32 v5, v4, s11, v3
	v_and_or_b32 v3, v8, s6, v7
	v_cmp_ne_u32_e32 vcc, 0, v3
	v_cndmask_b32_e64 v3, 0, 1, vcc
	v_lshrrev_b32_e32 v4, 8, v8
	v_and_or_b32 v7, v4, s7, v3
	v_bfe_u32 v4, v8, 20, 11
	v_sub_u32_e32 v9, 0x3f1, v4
	v_or_b32_e32 v3, 0x1000, v7
	v_med3_i32 v9, v9, 0, 13
	v_lshrrev_b32_e32 v10, v9, v3
	v_lshlrev_b32_e32 v9, v9, v10
	v_cmp_ne_u32_e32 vcc, v9, v3
	v_cndmask_b32_e64 v3, 0, 1, vcc
	v_add_u32_e32 v9, 0xfffffc10, v4
	v_or_b32_e32 v3, v10, v3
	v_lshl_or_b32 v4, v9, 12, v7
	v_cmp_gt_i32_e32 vcc, 1, v9
	v_cndmask_b32_e32 v3, v4, v3, vcc
	v_and_b32_e32 v4, 7, v3
	v_cmp_lt_i32_e32 vcc, 5, v4
	v_cmp_eq_u32_e64 s[0:1], 3, v4
	v_lshrrev_b32_e32 v3, 2, v3
	s_or_b64 vcc, s[0:1], vcc
	v_addc_co_u32_e32 v10, vcc, 0, v3, vcc
	v_add_u32_e32 v3, 0xa00, v29
	ds_read2_b32 v[3:4], v3 offset0:32 offset1:144
	v_cmp_gt_i32_e32 vcc, 31, v9
	v_cndmask_b32_e32 v10, v0, v10, vcc
	v_cmp_ne_u32_e32 vcc, 0, v7
	v_cndmask_b32_e64 v7, 0, 1, vcc
	s_waitcnt lgkmcnt(0)
	v_lshrrev_b32_e32 v11, 16, v3
	v_mul_f16_sdwa v12, v30, v11 dst_sel:DWORD dst_unused:UNUSED_PAD src0_sel:WORD_1 src1_sel:DWORD
	v_fma_f16 v12, v30, v3, v12
	v_cvt_f32_f16_e32 v12, v12
	v_lshl_or_b32 v7, v7, 9, v0
	v_cmp_eq_u32_e32 vcc, s10, v9
	v_cndmask_b32_e32 v7, v10, v7, vcc
	v_cvt_f64_f32_e32 v[9:10], v12
	v_lshrrev_b32_e32 v8, 16, v8
	v_and_or_b32 v12, v8, s11, v7
	v_and_b32_e32 v5, 0xffff, v5
	v_mul_f64 v[7:8], v[9:10], s[2:3]
	v_mov_b32_e32 v9, s9
	v_add_co_u32_e32 v1, vcc, s8, v1
	v_lshl_or_b32 v5, v12, 16, v5
	v_addc_co_u32_e32 v2, vcc, v2, v9, vcc
	global_store_dword v[1:2], v5, off
	v_and_or_b32 v5, v8, s6, v7
	v_cmp_ne_u32_e32 vcc, 0, v5
	v_cndmask_b32_e64 v5, 0, 1, vcc
	v_lshrrev_b32_e32 v7, 8, v8
	v_bfe_u32 v9, v8, 20, 11
	v_and_or_b32 v5, v7, s7, v5
	v_sub_u32_e32 v10, 0x3f1, v9
	v_or_b32_e32 v7, 0x1000, v5
	v_med3_i32 v10, v10, 0, 13
	v_lshrrev_b32_e32 v12, v10, v7
	v_lshlrev_b32_e32 v10, v10, v12
	v_cmp_ne_u32_e32 vcc, v10, v7
	v_mul_f16_sdwa v3, v30, v3 dst_sel:DWORD dst_unused:UNUSED_PAD src0_sel:WORD_1 src1_sel:DWORD
	v_cndmask_b32_e64 v7, 0, 1, vcc
	v_fma_f16 v3, v30, v11, -v3
	v_or_b32_e32 v7, v12, v7
	v_add_u32_e32 v12, 0xfffffc10, v9
	v_cvt_f32_f16_e32 v3, v3
	v_lshl_or_b32 v9, v12, 12, v5
	v_cmp_gt_i32_e32 vcc, 1, v12
	v_cndmask_b32_e32 v7, v9, v7, vcc
	v_and_b32_e32 v9, 7, v7
	v_cmp_lt_i32_e32 vcc, 5, v9
	v_cmp_eq_u32_e64 s[0:1], 3, v9
	v_cvt_f64_f32_e32 v[9:10], v3
	v_lshrrev_b32_e32 v7, 2, v7
	s_or_b64 vcc, s[0:1], vcc
	v_addc_co_u32_e32 v3, vcc, 0, v7, vcc
	v_mul_f64 v[9:10], v[9:10], s[2:3]
	v_cmp_gt_i32_e32 vcc, 31, v12
	v_cndmask_b32_e32 v3, v0, v3, vcc
	v_cmp_ne_u32_e32 vcc, 0, v5
	v_cndmask_b32_e64 v5, 0, 1, vcc
	v_lshl_or_b32 v5, v5, 9, v0
	v_cmp_eq_u32_e32 vcc, s10, v12
	v_cndmask_b32_e32 v3, v3, v5, vcc
	v_lshrrev_b32_e32 v5, 16, v8
	v_and_or_b32 v3, v5, s11, v3
	v_and_or_b32 v5, v10, s6, v9
	v_cmp_ne_u32_e32 vcc, 0, v5
	v_cndmask_b32_e64 v5, 0, 1, vcc
	v_lshrrev_b32_e32 v7, 8, v10
	v_bfe_u32 v8, v10, 20, 11
	v_and_or_b32 v5, v7, s7, v5
	v_sub_u32_e32 v9, 0x3f1, v8
	v_or_b32_e32 v7, 0x1000, v5
	v_med3_i32 v9, v9, 0, 13
	v_lshrrev_b32_e32 v11, v9, v7
	v_lshlrev_b32_e32 v9, v9, v11
	v_cmp_ne_u32_e32 vcc, v9, v7
	v_cndmask_b32_e64 v7, 0, 1, vcc
	v_add_u32_e32 v8, 0xfffffc10, v8
	v_or_b32_e32 v7, v11, v7
	v_lshl_or_b32 v9, v8, 12, v5
	v_cmp_gt_i32_e32 vcc, 1, v8
	v_cndmask_b32_e32 v7, v9, v7, vcc
	v_and_b32_e32 v9, 7, v7
	v_cmp_lt_i32_e32 vcc, 5, v9
	v_cmp_eq_u32_e64 s[0:1], 3, v9
	v_lshrrev_b32_e32 v9, 16, v6
	v_lshrrev_b32_e32 v7, 2, v7
	s_or_b64 vcc, s[0:1], vcc
	v_mul_f16_sdwa v11, v28, v9 dst_sel:DWORD dst_unused:UNUSED_PAD src0_sel:WORD_1 src1_sel:DWORD
	v_addc_co_u32_e32 v7, vcc, 0, v7, vcc
	v_fma_f16 v11, v28, v6, v11
	v_cmp_gt_i32_e32 vcc, 31, v8
	v_cvt_f32_f16_e32 v11, v11
	v_cndmask_b32_e32 v7, v0, v7, vcc
	v_cmp_ne_u32_e32 vcc, 0, v5
	v_cndmask_b32_e64 v5, 0, 1, vcc
	v_lshl_or_b32 v5, v5, 9, v0
	v_cmp_eq_u32_e32 vcc, s10, v8
	v_cndmask_b32_e32 v5, v7, v5, vcc
	v_cvt_f64_f32_e32 v[7:8], v11
	v_lshrrev_b32_e32 v10, 16, v10
	v_and_or_b32 v5, v10, s11, v5
	v_and_b32_e32 v3, 0xffff, v3
	v_mul_f64 v[7:8], v[7:8], s[2:3]
	v_lshl_or_b32 v3, v5, 16, v3
	v_mov_b32_e32 v5, s4
	v_add_co_u32_e32 v1, vcc, s5, v1
	v_addc_co_u32_e32 v2, vcc, v2, v5, vcc
	global_store_dword v[1:2], v3, off
	v_and_or_b32 v3, v8, s6, v7
	v_cmp_ne_u32_e32 vcc, 0, v3
	v_cndmask_b32_e64 v3, 0, 1, vcc
	v_lshrrev_b32_e32 v5, 8, v8
	v_bfe_u32 v7, v8, 20, 11
	v_and_or_b32 v3, v5, s7, v3
	v_sub_u32_e32 v10, 0x3f1, v7
	v_or_b32_e32 v5, 0x1000, v3
	v_med3_i32 v10, v10, 0, 13
	v_lshrrev_b32_e32 v11, v10, v5
	v_mul_f16_sdwa v6, v28, v6 dst_sel:DWORD dst_unused:UNUSED_PAD src0_sel:WORD_1 src1_sel:DWORD
	v_lshlrev_b32_e32 v10, v10, v11
	v_fma_f16 v6, v28, v9, -v6
	v_cmp_ne_u32_e32 vcc, v10, v5
	v_cvt_f32_f16_e32 v6, v6
	v_cndmask_b32_e64 v5, 0, 1, vcc
	v_add_u32_e32 v7, 0xfffffc10, v7
	v_or_b32_e32 v5, v11, v5
	v_lshl_or_b32 v10, v7, 12, v3
	v_cmp_gt_i32_e32 vcc, 1, v7
	v_cndmask_b32_e32 v5, v10, v5, vcc
	v_and_b32_e32 v10, 7, v5
	v_lshrrev_b32_e32 v9, 2, v5
	v_cvt_f64_f32_e32 v[5:6], v6
	v_cmp_lt_i32_e32 vcc, 5, v10
	v_cmp_eq_u32_e64 s[0:1], 3, v10
	s_or_b64 vcc, s[0:1], vcc
	v_mul_f64 v[5:6], v[5:6], s[2:3]
	v_addc_co_u32_e32 v9, vcc, 0, v9, vcc
	v_cmp_gt_i32_e32 vcc, 31, v7
	v_cndmask_b32_e32 v9, v0, v9, vcc
	v_cmp_ne_u32_e32 vcc, 0, v3
	v_cndmask_b32_e64 v3, 0, 1, vcc
	v_lshl_or_b32 v3, v3, 9, v0
	v_cmp_eq_u32_e32 vcc, s10, v7
	v_and_or_b32 v5, v6, s6, v5
	v_cndmask_b32_e32 v3, v9, v3, vcc
	v_lshrrev_b32_e32 v7, 16, v8
	v_cmp_ne_u32_e32 vcc, 0, v5
	v_and_or_b32 v3, v7, s11, v3
	v_cndmask_b32_e64 v5, 0, 1, vcc
	v_lshrrev_b32_e32 v7, 8, v6
	v_bfe_u32 v8, v6, 20, 11
	v_and_or_b32 v5, v7, s7, v5
	v_sub_u32_e32 v9, 0x3f1, v8
	v_or_b32_e32 v7, 0x1000, v5
	v_med3_i32 v9, v9, 0, 13
	v_lshrrev_b32_e32 v10, v9, v7
	v_lshlrev_b32_e32 v9, v9, v10
	v_cmp_ne_u32_e32 vcc, v9, v7
	v_cndmask_b32_e64 v7, 0, 1, vcc
	v_add_u32_e32 v8, 0xfffffc10, v8
	v_or_b32_e32 v7, v10, v7
	v_lshl_or_b32 v9, v8, 12, v5
	v_cmp_gt_i32_e32 vcc, 1, v8
	v_cndmask_b32_e32 v7, v9, v7, vcc
	v_and_b32_e32 v9, 7, v7
	v_cmp_lt_i32_e32 vcc, 5, v9
	v_cmp_eq_u32_e64 s[0:1], 3, v9
	v_lshrrev_b32_e32 v9, 16, v4
	v_lshrrev_b32_e32 v7, 2, v7
	s_or_b64 vcc, s[0:1], vcc
	v_mul_f16_sdwa v10, v27, v9 dst_sel:DWORD dst_unused:UNUSED_PAD src0_sel:WORD_1 src1_sel:DWORD
	v_addc_co_u32_e32 v7, vcc, 0, v7, vcc
	v_fma_f16 v10, v27, v4, v10
	v_cmp_gt_i32_e32 vcc, 31, v8
	v_cvt_f32_f16_e32 v10, v10
	v_cndmask_b32_e32 v7, v0, v7, vcc
	v_cmp_ne_u32_e32 vcc, 0, v5
	v_cndmask_b32_e64 v5, 0, 1, vcc
	v_lshl_or_b32 v5, v5, 9, v0
	v_cmp_eq_u32_e32 vcc, s10, v8
	v_cndmask_b32_e32 v5, v7, v5, vcc
	v_cvt_f64_f32_e32 v[7:8], v10
	v_lshrrev_b32_e32 v6, 16, v6
	v_and_or_b32 v10, v6, s11, v5
	v_and_b32_e32 v3, 0xffff, v3
	v_mul_f64 v[5:6], v[7:8], s[2:3]
	v_mov_b32_e32 v7, s9
	v_add_co_u32_e32 v1, vcc, s8, v1
	v_lshl_or_b32 v3, v10, 16, v3
	v_addc_co_u32_e32 v2, vcc, v2, v7, vcc
	global_store_dword v[1:2], v3, off
	v_and_or_b32 v3, v6, s6, v5
	v_cmp_ne_u32_e32 vcc, 0, v3
	v_cndmask_b32_e64 v3, 0, 1, vcc
	v_lshrrev_b32_e32 v5, 8, v6
	v_bfe_u32 v7, v6, 20, 11
	v_and_or_b32 v5, v5, s7, v3
	v_sub_u32_e32 v8, 0x3f1, v7
	v_or_b32_e32 v3, 0x1000, v5
	v_med3_i32 v8, v8, 0, 13
	v_lshrrev_b32_e32 v10, v8, v3
	v_lshlrev_b32_e32 v8, v8, v10
	v_mul_f16_sdwa v4, v27, v4 dst_sel:DWORD dst_unused:UNUSED_PAD src0_sel:WORD_1 src1_sel:DWORD
	v_cmp_ne_u32_e32 vcc, v8, v3
	v_fma_f16 v4, v27, v9, -v4
	v_cndmask_b32_e64 v3, 0, 1, vcc
	v_add_u32_e32 v7, 0xfffffc10, v7
	v_cvt_f32_f16_e32 v4, v4
	v_or_b32_e32 v3, v10, v3
	v_lshl_or_b32 v8, v7, 12, v5
	v_cmp_gt_i32_e32 vcc, 1, v7
	v_cndmask_b32_e32 v3, v8, v3, vcc
	v_and_b32_e32 v8, 7, v3
	v_cmp_lt_i32_e32 vcc, 5, v8
	v_cmp_eq_u32_e64 s[0:1], 3, v8
	v_lshrrev_b32_e32 v8, 2, v3
	v_cvt_f64_f32_e32 v[3:4], v4
	s_or_b64 vcc, s[0:1], vcc
	v_addc_co_u32_e32 v8, vcc, 0, v8, vcc
	v_mul_f64 v[3:4], v[3:4], s[2:3]
	v_cmp_gt_i32_e32 vcc, 31, v7
	v_cndmask_b32_e32 v8, v0, v8, vcc
	v_cmp_ne_u32_e32 vcc, 0, v5
	v_cndmask_b32_e64 v5, 0, 1, vcc
	v_lshl_or_b32 v5, v5, 9, v0
	v_cmp_eq_u32_e32 vcc, s10, v7
	v_cndmask_b32_e32 v5, v8, v5, vcc
	v_and_or_b32 v3, v4, s6, v3
	v_lshrrev_b32_e32 v6, 16, v6
	v_cmp_ne_u32_e32 vcc, 0, v3
	v_and_or_b32 v5, v6, s11, v5
	v_cndmask_b32_e64 v3, 0, 1, vcc
	v_lshrrev_b32_e32 v6, 8, v4
	v_bfe_u32 v7, v4, 20, 11
	v_and_or_b32 v3, v6, s7, v3
	v_sub_u32_e32 v8, 0x3f1, v7
	v_or_b32_e32 v6, 0x1000, v3
	v_med3_i32 v8, v8, 0, 13
	v_lshrrev_b32_e32 v9, v8, v6
	v_lshlrev_b32_e32 v8, v8, v9
	v_cmp_ne_u32_e32 vcc, v8, v6
	v_cndmask_b32_e64 v6, 0, 1, vcc
	v_add_u32_e32 v7, 0xfffffc10, v7
	v_or_b32_e32 v6, v9, v6
	v_lshl_or_b32 v8, v7, 12, v3
	v_cmp_gt_i32_e32 vcc, 1, v7
	v_cndmask_b32_e32 v6, v8, v6, vcc
	v_and_b32_e32 v8, 7, v6
	v_cmp_lt_i32_e32 vcc, 5, v8
	v_cmp_eq_u32_e64 s[0:1], 3, v8
	v_lshrrev_b32_e32 v6, 2, v6
	s_or_b64 vcc, s[0:1], vcc
	v_addc_co_u32_e32 v6, vcc, 0, v6, vcc
	v_cmp_gt_i32_e32 vcc, 31, v7
	v_cndmask_b32_e32 v6, v0, v6, vcc
	v_cmp_ne_u32_e32 vcc, 0, v3
	v_cndmask_b32_e64 v3, 0, 1, vcc
	v_lshl_or_b32 v0, v3, 9, v0
	v_cmp_eq_u32_e32 vcc, s10, v7
	v_cndmask_b32_e32 v0, v6, v0, vcc
	v_lshrrev_b32_e32 v3, 16, v4
	v_and_or_b32 v0, v3, s11, v0
	v_and_b32_e32 v3, 0xffff, v5
	v_lshl_or_b32 v3, v0, 16, v3
	v_mov_b32_e32 v4, s4
	v_add_co_u32_e32 v0, vcc, s5, v1
	v_addc_co_u32_e32 v1, vcc, v2, v4, vcc
	global_store_dword v[0:1], v3, off
.LBB0_10:
	s_endpgm
	.section	.rodata,"a",@progbits
	.p2align	6, 0x0
	.amdhsa_kernel bluestein_single_fwd_len896_dim1_half_op_CI_CI
		.amdhsa_group_segment_fixed_size 3584
		.amdhsa_private_segment_fixed_size 0
		.amdhsa_kernarg_size 104
		.amdhsa_user_sgpr_count 6
		.amdhsa_user_sgpr_private_segment_buffer 1
		.amdhsa_user_sgpr_dispatch_ptr 0
		.amdhsa_user_sgpr_queue_ptr 0
		.amdhsa_user_sgpr_kernarg_segment_ptr 1
		.amdhsa_user_sgpr_dispatch_id 0
		.amdhsa_user_sgpr_flat_scratch_init 0
		.amdhsa_user_sgpr_private_segment_size 0
		.amdhsa_uses_dynamic_stack 0
		.amdhsa_system_sgpr_private_segment_wavefront_offset 0
		.amdhsa_system_sgpr_workgroup_id_x 1
		.amdhsa_system_sgpr_workgroup_id_y 0
		.amdhsa_system_sgpr_workgroup_id_z 0
		.amdhsa_system_sgpr_workgroup_info 0
		.amdhsa_system_vgpr_workitem_id 0
		.amdhsa_next_free_vgpr 106
		.amdhsa_next_free_sgpr 20
		.amdhsa_reserve_vcc 1
		.amdhsa_reserve_flat_scratch 0
		.amdhsa_float_round_mode_32 0
		.amdhsa_float_round_mode_16_64 0
		.amdhsa_float_denorm_mode_32 3
		.amdhsa_float_denorm_mode_16_64 3
		.amdhsa_dx10_clamp 1
		.amdhsa_ieee_mode 1
		.amdhsa_fp16_overflow 0
		.amdhsa_exception_fp_ieee_invalid_op 0
		.amdhsa_exception_fp_denorm_src 0
		.amdhsa_exception_fp_ieee_div_zero 0
		.amdhsa_exception_fp_ieee_overflow 0
		.amdhsa_exception_fp_ieee_underflow 0
		.amdhsa_exception_fp_ieee_inexact 0
		.amdhsa_exception_int_div_zero 0
	.end_amdhsa_kernel
	.text
.Lfunc_end0:
	.size	bluestein_single_fwd_len896_dim1_half_op_CI_CI, .Lfunc_end0-bluestein_single_fwd_len896_dim1_half_op_CI_CI
                                        ; -- End function
	.section	.AMDGPU.csdata,"",@progbits
; Kernel info:
; codeLenInByte = 14776
; NumSgprs: 24
; NumVgprs: 106
; ScratchSize: 0
; MemoryBound: 0
; FloatMode: 240
; IeeeMode: 1
; LDSByteSize: 3584 bytes/workgroup (compile time only)
; SGPRBlocks: 2
; VGPRBlocks: 26
; NumSGPRsForWavesPerEU: 24
; NumVGPRsForWavesPerEU: 106
; Occupancy: 2
; WaveLimiterHint : 1
; COMPUTE_PGM_RSRC2:SCRATCH_EN: 0
; COMPUTE_PGM_RSRC2:USER_SGPR: 6
; COMPUTE_PGM_RSRC2:TRAP_HANDLER: 0
; COMPUTE_PGM_RSRC2:TGID_X_EN: 1
; COMPUTE_PGM_RSRC2:TGID_Y_EN: 0
; COMPUTE_PGM_RSRC2:TGID_Z_EN: 0
; COMPUTE_PGM_RSRC2:TIDIG_COMP_CNT: 0
	.type	__hip_cuid_787165967efd1fea,@object ; @__hip_cuid_787165967efd1fea
	.section	.bss,"aw",@nobits
	.globl	__hip_cuid_787165967efd1fea
__hip_cuid_787165967efd1fea:
	.byte	0                               ; 0x0
	.size	__hip_cuid_787165967efd1fea, 1

	.ident	"AMD clang version 19.0.0git (https://github.com/RadeonOpenCompute/llvm-project roc-6.4.0 25133 c7fe45cf4b819c5991fe208aaa96edf142730f1d)"
	.section	".note.GNU-stack","",@progbits
	.addrsig
	.addrsig_sym __hip_cuid_787165967efd1fea
	.amdgpu_metadata
---
amdhsa.kernels:
  - .args:
      - .actual_access:  read_only
        .address_space:  global
        .offset:         0
        .size:           8
        .value_kind:     global_buffer
      - .actual_access:  read_only
        .address_space:  global
        .offset:         8
        .size:           8
        .value_kind:     global_buffer
      - .actual_access:  read_only
        .address_space:  global
        .offset:         16
        .size:           8
        .value_kind:     global_buffer
      - .actual_access:  read_only
        .address_space:  global
        .offset:         24
        .size:           8
        .value_kind:     global_buffer
      - .actual_access:  read_only
        .address_space:  global
        .offset:         32
        .size:           8
        .value_kind:     global_buffer
      - .offset:         40
        .size:           8
        .value_kind:     by_value
      - .address_space:  global
        .offset:         48
        .size:           8
        .value_kind:     global_buffer
      - .address_space:  global
        .offset:         56
        .size:           8
        .value_kind:     global_buffer
      - .address_space:  global
        .offset:         64
        .size:           8
        .value_kind:     global_buffer
      - .address_space:  global
        .offset:         72
        .size:           8
        .value_kind:     global_buffer
      - .offset:         80
        .size:           4
        .value_kind:     by_value
      - .address_space:  global
        .offset:         88
        .size:           8
        .value_kind:     global_buffer
      - .address_space:  global
        .offset:         96
        .size:           8
        .value_kind:     global_buffer
    .group_segment_fixed_size: 3584
    .kernarg_segment_align: 8
    .kernarg_segment_size: 104
    .language:       OpenCL C
    .language_version:
      - 2
      - 0
    .max_flat_workgroup_size: 112
    .name:           bluestein_single_fwd_len896_dim1_half_op_CI_CI
    .private_segment_fixed_size: 0
    .sgpr_count:     24
    .sgpr_spill_count: 0
    .symbol:         bluestein_single_fwd_len896_dim1_half_op_CI_CI.kd
    .uniform_work_group_size: 1
    .uses_dynamic_stack: false
    .vgpr_count:     106
    .vgpr_spill_count: 0
    .wavefront_size: 64
amdhsa.target:   amdgcn-amd-amdhsa--gfx906
amdhsa.version:
  - 1
  - 2
...

	.end_amdgpu_metadata
